;; amdgpu-corpus repo=ROCm/rocFFT kind=compiled arch=gfx1201 opt=O3
	.text
	.amdgcn_target "amdgcn-amd-amdhsa--gfx1201"
	.amdhsa_code_object_version 6
	.protected	fft_rtc_fwd_len850_factors_10_5_17_wgs_85_tpt_85_dp_ip_CI_sbrr_dirReg ; -- Begin function fft_rtc_fwd_len850_factors_10_5_17_wgs_85_tpt_85_dp_ip_CI_sbrr_dirReg
	.globl	fft_rtc_fwd_len850_factors_10_5_17_wgs_85_tpt_85_dp_ip_CI_sbrr_dirReg
	.p2align	8
	.type	fft_rtc_fwd_len850_factors_10_5_17_wgs_85_tpt_85_dp_ip_CI_sbrr_dirReg,@function
fft_rtc_fwd_len850_factors_10_5_17_wgs_85_tpt_85_dp_ip_CI_sbrr_dirReg: ; @fft_rtc_fwd_len850_factors_10_5_17_wgs_85_tpt_85_dp_ip_CI_sbrr_dirReg
; %bb.0:
	s_clause 0x2
	s_load_b64 s[12:13], s[0:1], 0x18
	s_load_b128 s[4:7], s[0:1], 0x0
	s_load_b64 s[10:11], s[0:1], 0x50
	v_mul_u32_u24_e32 v1, 0x304, v0
	v_mov_b32_e32 v3, 0
	s_delay_alu instid0(VALU_DEP_2) | instskip(NEXT) | instid1(VALU_DEP_1)
	v_lshrrev_b32_e32 v1, 16, v1
	v_add_nc_u32_e32 v5, ttmp9, v1
	v_mov_b32_e32 v1, 0
	v_mov_b32_e32 v2, 0
	;; [unrolled: 1-line block ×3, first 2 shown]
	s_wait_kmcnt 0x0
	s_load_b64 s[8:9], s[12:13], 0x0
	v_cmp_lt_u64_e64 s2, s[6:7], 2
	s_delay_alu instid0(VALU_DEP_1)
	s_and_b32 vcc_lo, exec_lo, s2
	s_cbranch_vccnz .LBB0_8
; %bb.1:
	s_load_b64 s[2:3], s[0:1], 0x10
	v_mov_b32_e32 v1, 0
	v_mov_b32_e32 v2, 0
	s_add_nc_u64 s[14:15], s[12:13], 8
	s_mov_b64 s[16:17], 1
	s_wait_kmcnt 0x0
	s_add_nc_u64 s[18:19], s[2:3], 8
	s_mov_b32 s3, 0
.LBB0_2:                                ; =>This Inner Loop Header: Depth=1
	s_load_b64 s[20:21], s[18:19], 0x0
                                        ; implicit-def: $vgpr7_vgpr8
	s_mov_b32 s2, exec_lo
	s_wait_kmcnt 0x0
	v_or_b32_e32 v4, s21, v6
	s_delay_alu instid0(VALU_DEP_1)
	v_cmpx_ne_u64_e32 0, v[3:4]
	s_wait_alu 0xfffe
	s_xor_b32 s22, exec_lo, s2
	s_cbranch_execz .LBB0_4
; %bb.3:                                ;   in Loop: Header=BB0_2 Depth=1
	s_cvt_f32_u32 s2, s20
	s_cvt_f32_u32 s23, s21
	s_sub_nc_u64 s[26:27], 0, s[20:21]
	s_wait_alu 0xfffe
	s_delay_alu instid0(SALU_CYCLE_1) | instskip(SKIP_1) | instid1(SALU_CYCLE_2)
	s_fmamk_f32 s2, s23, 0x4f800000, s2
	s_wait_alu 0xfffe
	v_s_rcp_f32 s2, s2
	s_delay_alu instid0(TRANS32_DEP_1) | instskip(SKIP_1) | instid1(SALU_CYCLE_2)
	s_mul_f32 s2, s2, 0x5f7ffffc
	s_wait_alu 0xfffe
	s_mul_f32 s23, s2, 0x2f800000
	s_wait_alu 0xfffe
	s_delay_alu instid0(SALU_CYCLE_2) | instskip(SKIP_1) | instid1(SALU_CYCLE_2)
	s_trunc_f32 s23, s23
	s_wait_alu 0xfffe
	s_fmamk_f32 s2, s23, 0xcf800000, s2
	s_cvt_u32_f32 s25, s23
	s_wait_alu 0xfffe
	s_delay_alu instid0(SALU_CYCLE_1) | instskip(SKIP_1) | instid1(SALU_CYCLE_2)
	s_cvt_u32_f32 s24, s2
	s_wait_alu 0xfffe
	s_mul_u64 s[28:29], s[26:27], s[24:25]
	s_wait_alu 0xfffe
	s_mul_hi_u32 s31, s24, s29
	s_mul_i32 s30, s24, s29
	s_mul_hi_u32 s2, s24, s28
	s_mul_i32 s33, s25, s28
	s_wait_alu 0xfffe
	s_add_nc_u64 s[30:31], s[2:3], s[30:31]
	s_mul_hi_u32 s23, s25, s28
	s_mul_hi_u32 s34, s25, s29
	s_add_co_u32 s2, s30, s33
	s_wait_alu 0xfffe
	s_add_co_ci_u32 s2, s31, s23
	s_mul_i32 s28, s25, s29
	s_add_co_ci_u32 s29, s34, 0
	s_wait_alu 0xfffe
	s_add_nc_u64 s[28:29], s[2:3], s[28:29]
	s_wait_alu 0xfffe
	v_add_co_u32 v4, s2, s24, s28
	s_delay_alu instid0(VALU_DEP_1) | instskip(SKIP_1) | instid1(VALU_DEP_1)
	s_cmp_lg_u32 s2, 0
	s_add_co_ci_u32 s25, s25, s29
	v_readfirstlane_b32 s24, v4
	s_wait_alu 0xfffe
	s_delay_alu instid0(VALU_DEP_1)
	s_mul_u64 s[26:27], s[26:27], s[24:25]
	s_wait_alu 0xfffe
	s_mul_hi_u32 s29, s24, s27
	s_mul_i32 s28, s24, s27
	s_mul_hi_u32 s2, s24, s26
	s_mul_i32 s30, s25, s26
	s_wait_alu 0xfffe
	s_add_nc_u64 s[28:29], s[2:3], s[28:29]
	s_mul_hi_u32 s23, s25, s26
	s_mul_hi_u32 s24, s25, s27
	s_wait_alu 0xfffe
	s_add_co_u32 s2, s28, s30
	s_add_co_ci_u32 s2, s29, s23
	s_mul_i32 s26, s25, s27
	s_add_co_ci_u32 s27, s24, 0
	s_wait_alu 0xfffe
	s_add_nc_u64 s[26:27], s[2:3], s[26:27]
	s_wait_alu 0xfffe
	v_add_co_u32 v4, s2, v4, s26
	s_delay_alu instid0(VALU_DEP_1) | instskip(SKIP_1) | instid1(VALU_DEP_1)
	s_cmp_lg_u32 s2, 0
	s_add_co_ci_u32 s2, s25, s27
	v_mul_hi_u32 v13, v5, v4
	s_wait_alu 0xfffe
	v_mad_co_u64_u32 v[7:8], null, v5, s2, 0
	v_mad_co_u64_u32 v[9:10], null, v6, v4, 0
	;; [unrolled: 1-line block ×3, first 2 shown]
	s_delay_alu instid0(VALU_DEP_3) | instskip(SKIP_1) | instid1(VALU_DEP_4)
	v_add_co_u32 v4, vcc_lo, v13, v7
	s_wait_alu 0xfffd
	v_add_co_ci_u32_e32 v7, vcc_lo, 0, v8, vcc_lo
	s_delay_alu instid0(VALU_DEP_2) | instskip(SKIP_1) | instid1(VALU_DEP_2)
	v_add_co_u32 v4, vcc_lo, v4, v9
	s_wait_alu 0xfffd
	v_add_co_ci_u32_e32 v4, vcc_lo, v7, v10, vcc_lo
	s_wait_alu 0xfffd
	v_add_co_ci_u32_e32 v7, vcc_lo, 0, v12, vcc_lo
	s_delay_alu instid0(VALU_DEP_2) | instskip(SKIP_1) | instid1(VALU_DEP_2)
	v_add_co_u32 v4, vcc_lo, v4, v11
	s_wait_alu 0xfffd
	v_add_co_ci_u32_e32 v9, vcc_lo, 0, v7, vcc_lo
	s_delay_alu instid0(VALU_DEP_2) | instskip(SKIP_1) | instid1(VALU_DEP_3)
	v_mul_lo_u32 v10, s21, v4
	v_mad_co_u64_u32 v[7:8], null, s20, v4, 0
	v_mul_lo_u32 v11, s20, v9
	s_delay_alu instid0(VALU_DEP_2) | instskip(NEXT) | instid1(VALU_DEP_2)
	v_sub_co_u32 v7, vcc_lo, v5, v7
	v_add3_u32 v8, v8, v11, v10
	s_delay_alu instid0(VALU_DEP_1) | instskip(SKIP_1) | instid1(VALU_DEP_1)
	v_sub_nc_u32_e32 v10, v6, v8
	s_wait_alu 0xfffd
	v_subrev_co_ci_u32_e64 v10, s2, s21, v10, vcc_lo
	v_add_co_u32 v11, s2, v4, 2
	s_wait_alu 0xf1ff
	v_add_co_ci_u32_e64 v12, s2, 0, v9, s2
	v_sub_co_u32 v13, s2, v7, s20
	v_sub_co_ci_u32_e32 v8, vcc_lo, v6, v8, vcc_lo
	s_wait_alu 0xf1ff
	v_subrev_co_ci_u32_e64 v10, s2, 0, v10, s2
	s_delay_alu instid0(VALU_DEP_3) | instskip(NEXT) | instid1(VALU_DEP_3)
	v_cmp_le_u32_e32 vcc_lo, s20, v13
	v_cmp_eq_u32_e64 s2, s21, v8
	s_wait_alu 0xfffd
	v_cndmask_b32_e64 v13, 0, -1, vcc_lo
	v_cmp_le_u32_e32 vcc_lo, s21, v10
	s_wait_alu 0xfffd
	v_cndmask_b32_e64 v14, 0, -1, vcc_lo
	v_cmp_le_u32_e32 vcc_lo, s20, v7
	;; [unrolled: 3-line block ×3, first 2 shown]
	s_wait_alu 0xfffd
	v_cndmask_b32_e64 v15, 0, -1, vcc_lo
	v_cmp_eq_u32_e32 vcc_lo, s21, v10
	s_wait_alu 0xf1ff
	s_delay_alu instid0(VALU_DEP_2)
	v_cndmask_b32_e64 v7, v15, v7, s2
	s_wait_alu 0xfffd
	v_cndmask_b32_e32 v10, v14, v13, vcc_lo
	v_add_co_u32 v13, vcc_lo, v4, 1
	s_wait_alu 0xfffd
	v_add_co_ci_u32_e32 v14, vcc_lo, 0, v9, vcc_lo
	s_delay_alu instid0(VALU_DEP_3) | instskip(SKIP_2) | instid1(VALU_DEP_3)
	v_cmp_ne_u32_e32 vcc_lo, 0, v10
	s_wait_alu 0xfffd
	v_cndmask_b32_e32 v10, v13, v11, vcc_lo
	v_cndmask_b32_e32 v8, v14, v12, vcc_lo
	v_cmp_ne_u32_e32 vcc_lo, 0, v7
	s_wait_alu 0xfffd
	s_delay_alu instid0(VALU_DEP_2)
	v_dual_cndmask_b32 v7, v4, v10 :: v_dual_cndmask_b32 v8, v9, v8
.LBB0_4:                                ;   in Loop: Header=BB0_2 Depth=1
	s_wait_alu 0xfffe
	s_and_not1_saveexec_b32 s2, s22
	s_cbranch_execz .LBB0_6
; %bb.5:                                ;   in Loop: Header=BB0_2 Depth=1
	v_cvt_f32_u32_e32 v4, s20
	s_sub_co_i32 s22, 0, s20
	s_delay_alu instid0(VALU_DEP_1) | instskip(NEXT) | instid1(TRANS32_DEP_1)
	v_rcp_iflag_f32_e32 v4, v4
	v_mul_f32_e32 v4, 0x4f7ffffe, v4
	s_delay_alu instid0(VALU_DEP_1) | instskip(SKIP_1) | instid1(VALU_DEP_1)
	v_cvt_u32_f32_e32 v4, v4
	s_wait_alu 0xfffe
	v_mul_lo_u32 v7, s22, v4
	s_delay_alu instid0(VALU_DEP_1) | instskip(NEXT) | instid1(VALU_DEP_1)
	v_mul_hi_u32 v7, v4, v7
	v_add_nc_u32_e32 v4, v4, v7
	s_delay_alu instid0(VALU_DEP_1) | instskip(NEXT) | instid1(VALU_DEP_1)
	v_mul_hi_u32 v4, v5, v4
	v_mul_lo_u32 v7, v4, s20
	v_add_nc_u32_e32 v8, 1, v4
	s_delay_alu instid0(VALU_DEP_2) | instskip(NEXT) | instid1(VALU_DEP_1)
	v_sub_nc_u32_e32 v7, v5, v7
	v_subrev_nc_u32_e32 v9, s20, v7
	v_cmp_le_u32_e32 vcc_lo, s20, v7
	s_wait_alu 0xfffd
	s_delay_alu instid0(VALU_DEP_2) | instskip(NEXT) | instid1(VALU_DEP_1)
	v_dual_cndmask_b32 v7, v7, v9 :: v_dual_cndmask_b32 v4, v4, v8
	v_cmp_le_u32_e32 vcc_lo, s20, v7
	s_delay_alu instid0(VALU_DEP_2) | instskip(SKIP_1) | instid1(VALU_DEP_1)
	v_add_nc_u32_e32 v8, 1, v4
	s_wait_alu 0xfffd
	v_dual_cndmask_b32 v7, v4, v8 :: v_dual_mov_b32 v8, v3
.LBB0_6:                                ;   in Loop: Header=BB0_2 Depth=1
	s_wait_alu 0xfffe
	s_or_b32 exec_lo, exec_lo, s2
	s_load_b64 s[22:23], s[14:15], 0x0
	s_delay_alu instid0(VALU_DEP_1)
	v_mul_lo_u32 v4, v8, s20
	v_mul_lo_u32 v11, v7, s21
	v_mad_co_u64_u32 v[9:10], null, v7, s20, 0
	s_add_nc_u64 s[16:17], s[16:17], 1
	s_add_nc_u64 s[14:15], s[14:15], 8
	s_wait_alu 0xfffe
	v_cmp_ge_u64_e64 s2, s[16:17], s[6:7]
	s_add_nc_u64 s[18:19], s[18:19], 8
	s_delay_alu instid0(VALU_DEP_2) | instskip(NEXT) | instid1(VALU_DEP_3)
	v_add3_u32 v4, v10, v11, v4
	v_sub_co_u32 v5, vcc_lo, v5, v9
	s_wait_alu 0xfffd
	s_delay_alu instid0(VALU_DEP_2) | instskip(SKIP_3) | instid1(VALU_DEP_2)
	v_sub_co_ci_u32_e32 v4, vcc_lo, v6, v4, vcc_lo
	s_and_b32 vcc_lo, exec_lo, s2
	s_wait_kmcnt 0x0
	v_mul_lo_u32 v6, s23, v5
	v_mul_lo_u32 v4, s22, v4
	v_mad_co_u64_u32 v[1:2], null, s22, v5, v[1:2]
	s_delay_alu instid0(VALU_DEP_1)
	v_add3_u32 v2, v6, v2, v4
	s_wait_alu 0xfffe
	s_cbranch_vccnz .LBB0_9
; %bb.7:                                ;   in Loop: Header=BB0_2 Depth=1
	v_dual_mov_b32 v5, v7 :: v_dual_mov_b32 v6, v8
	s_branch .LBB0_2
.LBB0_8:
	v_dual_mov_b32 v8, v6 :: v_dual_mov_b32 v7, v5
.LBB0_9:
	s_lshl_b64 s[2:3], s[6:7], 3
	v_mul_hi_u32 v3, 0x3030304, v0
	s_wait_alu 0xfffe
	s_add_nc_u64 s[2:3], s[12:13], s[2:3]
	s_load_b64 s[2:3], s[2:3], 0x0
	s_load_b64 s[0:1], s[0:1], 0x20
	s_delay_alu instid0(VALU_DEP_1) | instskip(NEXT) | instid1(VALU_DEP_1)
	v_mul_u32_u24_e32 v3, 0x55, v3
	v_sub_nc_u32_e32 v255, v0, v3
	s_delay_alu instid0(VALU_DEP_1)
	v_add_nc_u32_e32 v40, 0x55, v255
	s_wait_kmcnt 0x0
	v_mul_lo_u32 v4, s2, v8
	v_mul_lo_u32 v5, s3, v7
	v_mad_co_u64_u32 v[1:2], null, s2, v7, v[1:2]
	v_cmp_gt_u64_e32 vcc_lo, s[0:1], v[7:8]
	v_cmp_le_u64_e64 s0, s[0:1], v[7:8]
	s_delay_alu instid0(VALU_DEP_3) | instskip(NEXT) | instid1(VALU_DEP_2)
	v_add3_u32 v2, v5, v2, v4
	s_and_saveexec_b32 s1, s0
	s_wait_alu 0xfffe
	s_xor_b32 s0, exec_lo, s1
; %bb.10:
	v_add_nc_u32_e32 v40, 0x55, v255
; %bb.11:
	s_wait_alu 0xfffe
	s_or_saveexec_b32 s1, s0
	v_lshlrev_b64_e32 v[68:69], 4, v[1:2]
                                        ; implicit-def: $vgpr14_vgpr15
                                        ; implicit-def: $vgpr10_vgpr11
                                        ; implicit-def: $vgpr22_vgpr23
                                        ; implicit-def: $vgpr26_vgpr27
                                        ; implicit-def: $vgpr34_vgpr35
                                        ; implicit-def: $vgpr38_vgpr39
                                        ; implicit-def: $vgpr30_vgpr31
                                        ; implicit-def: $vgpr18_vgpr19
                                        ; implicit-def: $vgpr6_vgpr7
                                        ; implicit-def: $vgpr2_vgpr3
	s_wait_alu 0xfffe
	s_xor_b32 exec_lo, exec_lo, s1
	s_cbranch_execz .LBB0_13
; %bb.12:
	v_add_nc_u32_e32 v10, 0xaa, v255
	v_mad_co_u64_u32 v[0:1], null, s8, v255, 0
	v_mad_co_u64_u32 v[2:3], null, s8, v40, 0
	s_delay_alu instid0(VALU_DEP_3)
	v_mad_co_u64_u32 v[4:5], null, s8, v10, 0
	v_add_nc_u32_e32 v11, 0xff, v255
	v_add_co_u32 v27, s0, s10, v68
	s_wait_alu 0xf1ff
	v_add_co_ci_u32_e64 v34, s0, s11, v69, s0
	v_mad_co_u64_u32 v[6:7], null, s9, v255, v[1:2]
	v_mad_co_u64_u32 v[7:8], null, s9, v40, v[3:4]
	;; [unrolled: 1-line block ×3, first 2 shown]
	v_dual_mov_b32 v3, v5 :: v_dual_add_nc_u32 v16, 0x154, v255
	s_delay_alu instid0(VALU_DEP_4) | instskip(SKIP_1) | instid1(VALU_DEP_3)
	v_dual_mov_b32 v1, v6 :: v_dual_add_nc_u32 v18, 0x1a9, v255
	v_add_nc_u32_e32 v25, 0x1fe, v255
	v_mad_co_u64_u32 v[5:6], null, s9, v10, v[3:4]
	v_dual_mov_b32 v3, v7 :: v_dual_mov_b32 v6, v9
	s_delay_alu instid0(VALU_DEP_4) | instskip(SKIP_2) | instid1(VALU_DEP_4)
	v_lshlrev_b64_e32 v[0:1], 4, v[0:1]
	v_mad_co_u64_u32 v[12:13], null, s8, v16, 0
	v_mad_co_u64_u32 v[14:15], null, s8, v18, 0
	;; [unrolled: 1-line block ×3, first 2 shown]
	v_lshlrev_b64_e32 v[2:3], 4, v[2:3]
	v_add_co_u32 v0, s0, v27, v0
	v_lshlrev_b64_e32 v[10:11], 4, v[4:5]
	s_wait_alu 0xf1ff
	v_add_co_ci_u32_e64 v1, s0, v34, v1, s0
	v_mad_co_u64_u32 v[16:17], null, s9, v16, v[13:14]
	v_dual_mov_b32 v13, v15 :: v_dual_add_nc_u32 v26, 0x253, v255
	v_add_co_u32 v6, s0, v27, v2
	v_lshlrev_b64_e32 v[8:9], 4, v[8:9]
	s_wait_alu 0xf1ff
	v_add_co_ci_u32_e64 v7, s0, v34, v3, s0
	v_add_co_u32 v10, s0, v27, v10
	v_mad_co_u64_u32 v[22:23], null, s9, v18, v[13:14]
	s_wait_alu 0xf1ff
	v_add_co_ci_u32_e64 v11, s0, v34, v11, s0
	v_mad_co_u64_u32 v[20:21], null, s8, v25, 0
	v_add_co_u32 v8, s0, v27, v8
	v_mov_b32_e32 v13, v16
	s_wait_alu 0xf1ff
	v_add_co_ci_u32_e64 v9, s0, v34, v9, s0
	s_clause 0x1
	global_load_b128 v[0:3], v[0:1], off
	global_load_b128 v[4:7], v[6:7], off
	v_mad_co_u64_u32 v[23:24], null, s8, v26, 0
	s_clause 0x1
	global_load_b128 v[16:19], v[10:11], off
	global_load_b128 v[28:31], v[8:9], off
	v_dual_mov_b32 v15, v22 :: v_dual_add_nc_u32 v22, 0x2a8, v255
	v_lshlrev_b64_e32 v[9:10], 4, v[12:13]
	v_mov_b32_e32 v8, v21
	s_delay_alu instid0(VALU_DEP_1) | instskip(SKIP_3) | instid1(VALU_DEP_3)
	v_mad_co_u64_u32 v[11:12], null, s9, v25, v[8:9]
	v_mov_b32_e32 v8, v24
	v_mad_co_u64_u32 v[12:13], null, s8, v22, 0
	v_add_nc_u32_e32 v35, 0x2fd, v255
	v_mad_co_u64_u32 v[24:25], null, s9, v26, v[8:9]
	v_add_co_u32 v8, s0, v27, v9
	s_wait_alu 0xf1ff
	v_add_co_ci_u32_e64 v9, s0, v34, v10, s0
	v_mov_b32_e32 v10, v13
	v_mad_co_u64_u32 v[25:26], null, s8, v35, 0
	v_lshlrev_b64_e32 v[13:14], 4, v[14:15]
	v_mov_b32_e32 v21, v11
	s_delay_alu instid0(VALU_DEP_4) | instskip(NEXT) | instid1(VALU_DEP_4)
	v_mad_co_u64_u32 v[10:11], null, s9, v22, v[10:11]
	v_mov_b32_e32 v11, v26
	s_delay_alu instid0(VALU_DEP_4)
	v_add_co_u32 v32, s0, v27, v13
	s_wait_alu 0xf1ff
	v_add_co_ci_u32_e64 v33, s0, v34, v14, s0
	v_lshlrev_b64_e32 v[14:15], 4, v[20:21]
	v_mad_co_u64_u32 v[20:21], null, s9, v35, v[11:12]
	v_mov_b32_e32 v13, v10
	v_lshlrev_b64_e32 v[21:22], 4, v[23:24]
	s_delay_alu instid0(VALU_DEP_4) | instskip(NEXT) | instid1(VALU_DEP_3)
	v_add_co_u32 v10, s0, v27, v14
	v_lshlrev_b64_e32 v[12:13], 4, v[12:13]
	v_mov_b32_e32 v26, v20
	s_wait_alu 0xf1ff
	v_add_co_ci_u32_e64 v11, s0, v34, v15, s0
	v_add_co_u32 v14, s0, v27, v21
	s_delay_alu instid0(VALU_DEP_3)
	v_lshlrev_b64_e32 v[20:21], 4, v[25:26]
	s_wait_alu 0xf1ff
	v_add_co_ci_u32_e64 v15, s0, v34, v22, s0
	v_add_co_u32 v12, s0, v27, v12
	s_wait_alu 0xf1ff
	v_add_co_ci_u32_e64 v13, s0, v34, v13, s0
	v_add_co_u32 v41, s0, v27, v20
	s_wait_alu 0xf1ff
	v_add_co_ci_u32_e64 v42, s0, v34, v21, s0
	s_clause 0x5
	global_load_b128 v[36:39], v[8:9], off
	global_load_b128 v[32:35], v[32:33], off
	;; [unrolled: 1-line block ×6, first 2 shown]
.LBB0_13:
	s_or_b32 exec_lo, exec_lo, s1
	s_wait_loadcnt 0x2
	v_add_f64_e32 v[41:42], v[20:21], v[32:33]
	s_wait_loadcnt 0x0
	v_add_f64_e32 v[43:44], v[12:13], v[28:29]
	v_add_f64_e32 v[45:46], v[14:15], v[30:31]
	;; [unrolled: 1-line block ×3, first 2 shown]
	v_add_f64_e64 v[49:50], v[30:31], -v[14:15]
	v_add_f64_e64 v[51:52], v[34:35], -v[22:23]
	;; [unrolled: 1-line block ×4, first 2 shown]
	s_mov_b32 s0, 0x134454ff
	s_mov_b32 s1, 0x3fee6f0e
	;; [unrolled: 1-line block ×3, first 2 shown]
	s_wait_alu 0xfffe
	s_mov_b32 s6, s0
	v_add_f64_e32 v[57:58], v[24:25], v[36:37]
	v_add_f64_e32 v[59:60], v[8:9], v[16:17]
	;; [unrolled: 1-line block ×4, first 2 shown]
	v_add_f64_e64 v[65:66], v[28:29], -v[32:33]
	v_add_f64_e64 v[70:71], v[12:13], -v[20:21]
	;; [unrolled: 1-line block ×8, first 2 shown]
	s_mov_b32 s2, 0x4755a5e
	s_mov_b32 s3, 0x3fe2cf23
	;; [unrolled: 1-line block ×3, first 2 shown]
	s_wait_alu 0xfffe
	s_mov_b32 s12, s2
	v_add_f64_e32 v[92:93], v[18:19], v[2:3]
	v_add_f64_e64 v[94:95], v[38:39], -v[26:27]
	v_add_f64_e64 v[96:97], v[16:17], -v[8:9]
	;; [unrolled: 1-line block ×3, first 2 shown]
	s_mov_b32 s14, 0x372fe950
	s_mov_b32 s15, 0x3fd3c6ef
	;; [unrolled: 1-line block ×4, first 2 shown]
	v_fma_f64 v[41:42], v[41:42], -0.5, v[4:5]
	v_fma_f64 v[43:44], v[43:44], -0.5, v[4:5]
	;; [unrolled: 1-line block ×4, first 2 shown]
	v_add_f64_e32 v[4:5], v[28:29], v[4:5]
	v_add_f64_e32 v[6:7], v[30:31], v[6:7]
	;; [unrolled: 1-line block ×3, first 2 shown]
	v_add_f64_e64 v[30:31], v[18:19], -v[10:11]
	v_fma_f64 v[57:58], v[57:58], -0.5, v[0:1]
	v_fma_f64 v[0:1], v[59:60], -0.5, v[0:1]
	;; [unrolled: 1-line block ×4, first 2 shown]
	v_add_f64_e32 v[61:62], v[70:71], v[65:66]
	v_add_f64_e32 v[63:64], v[74:75], v[72:73]
	v_fma_f64 v[80:81], v[49:50], s[0:1], v[41:42]
	v_fma_f64 v[82:83], v[51:52], s[6:7], v[43:44]
	;; [unrolled: 1-line block ×8, first 2 shown]
	v_add_f64_e32 v[28:29], v[36:37], v[28:29]
	v_add_f64_e32 v[4:5], v[32:33], v[4:5]
	;; [unrolled: 1-line block ×3, first 2 shown]
	v_fma_f64 v[32:33], v[30:31], s[0:1], v[57:58]
	v_fma_f64 v[34:35], v[30:31], s[6:7], v[57:58]
	;; [unrolled: 1-line block ×8, first 2 shown]
	v_add_f64_e32 v[51:52], v[86:87], v[84:85]
	v_fma_f64 v[72:73], v[53:54], s[2:3], v[88:89]
	v_add_f64_e32 v[49:50], v[78:79], v[76:77]
	v_fma_f64 v[74:75], v[55:56], s[2:3], v[90:91]
	v_add_f64_e64 v[76:77], v[16:17], -v[36:37]
	v_add_f64_e64 v[16:17], v[36:37], -v[16:17]
	v_add_f64_e32 v[36:37], v[38:39], v[92:93]
	v_add_f64_e64 v[78:79], v[8:9], -v[24:25]
	v_add_f64_e64 v[82:83], v[18:19], -v[38:39]
	v_add_f64_e64 v[18:19], v[38:39], -v[18:19]
	v_add_f64_e64 v[84:85], v[10:11], -v[26:27]
	v_fma_f64 v[38:39], v[94:95], s[6:7], v[0:1]
	v_fma_f64 v[0:1], v[94:95], s[0:1], v[0:1]
	;; [unrolled: 1-line block ×4, first 2 shown]
	v_add_f64_e64 v[80:81], v[24:25], -v[8:9]
	v_add_f64_e64 v[86:87], v[26:27], -v[10:11]
	v_fma_f64 v[88:89], v[98:99], s[0:1], v[2:3]
	v_fma_f64 v[2:3], v[98:99], s[6:7], v[2:3]
	v_add_f64_e32 v[24:25], v[24:25], v[28:29]
	v_add_f64_e32 v[4:5], v[20:21], v[4:5]
	;; [unrolled: 1-line block ×3, first 2 shown]
	v_fma_f64 v[20:21], v[94:95], s[2:3], v[32:33]
	v_fma_f64 v[32:33], v[98:99], s[2:3], v[59:60]
	;; [unrolled: 1-line block ×9, first 2 shown]
	v_add_f64_e32 v[26:27], v[26:27], v[36:37]
	v_add_f64_e32 v[65:66], v[78:79], v[76:77]
	;; [unrolled: 1-line block ×3, first 2 shown]
	v_fma_f64 v[28:29], v[30:31], s[2:3], v[38:39]
	v_fma_f64 v[0:1], v[30:31], s[12:13], v[0:1]
	;; [unrolled: 1-line block ×5, first 2 shown]
	v_add_f64_e32 v[16:17], v[80:81], v[16:17]
	v_add_f64_e32 v[18:19], v[86:87], v[18:19]
	v_fma_f64 v[34:35], v[96:97], s[12:13], v[88:89]
	v_fma_f64 v[2:3], v[96:97], s[2:3], v[2:3]
	v_add_f64_e32 v[8:9], v[8:9], v[24:25]
	v_add_f64_e32 v[4:5], v[12:13], v[4:5]
	;; [unrolled: 1-line block ×3, first 2 shown]
	s_wait_alu 0xfffe
	v_mul_f64_e32 v[45:46], s[16:17], v[53:54]
	v_mul_f64_e32 v[47:48], s[14:15], v[55:56]
	;; [unrolled: 1-line block ×8, first 2 shown]
	v_add_f64_e32 v[10:11], v[10:11], v[26:27]
	v_fma_f64 v[24:25], v[65:66], s[14:15], v[20:21]
	v_fma_f64 v[26:27], v[65:66], s[14:15], v[22:23]
	;; [unrolled: 1-line block ×8, first 2 shown]
	v_add_f64_e32 v[0:1], v[4:5], v[8:9]
	v_add_f64_e64 v[4:5], v[8:9], -v[4:5]
	v_fma_f64 v[32:33], v[36:37], s[2:3], v[45:46]
	v_fma_f64 v[45:46], v[38:39], s[0:1], v[47:48]
	v_fma_f64 v[47:48], v[61:62], s[0:1], -v[49:50]
	v_fma_f64 v[49:50], v[63:64], s[2:3], -v[51:52]
	v_fma_f64 v[51:52], v[36:37], s[16:17], v[53:54]
	v_fma_f64 v[38:39], v[38:39], s[14:15], v[55:56]
	v_fma_f64 v[43:44], v[43:44], s[6:7], -v[57:58]
	v_fma_f64 v[41:42], v[41:42], s[12:13], -v[59:60]
	v_and_b32_e32 v53, 0xff, v255
	v_add_f64_e32 v[2:3], v[6:7], v[10:11]
	v_add_f64_e64 v[6:7], v[10:11], -v[6:7]
	v_add_f64_e32 v[8:9], v[24:25], v[32:33]
	v_add_f64_e32 v[12:13], v[28:29], v[45:46]
	;; [unrolled: 1-line block ×8, first 2 shown]
	v_add_f64_e64 v[24:25], v[24:25], -v[32:33]
	v_add_f64_e64 v[36:37], v[26:27], -v[49:50]
	;; [unrolled: 1-line block ×8, first 2 shown]
	v_and_b32_e32 v41, 0xff, v40
	v_mul_lo_u16 v42, 0xcd, v53
	v_mul_u32_u24_e32 v43, 10, v255
	v_lshl_add_u32 v65, v40, 4, 0
	s_delay_alu instid0(VALU_DEP_4) | instskip(NEXT) | instid1(VALU_DEP_4)
	v_mul_lo_u16 v41, 0xcd, v41
	v_lshrrev_b16 v108, 11, v42
	s_delay_alu instid0(VALU_DEP_2) | instskip(NEXT) | instid1(VALU_DEP_2)
	v_lshrrev_b16 v109, 11, v41
	v_mul_lo_u16 v41, v108, 10
	s_delay_alu instid0(VALU_DEP_2) | instskip(NEXT) | instid1(VALU_DEP_2)
	v_mul_lo_u16 v42, v109, 10
	v_sub_nc_u16 v41, v255, v41
	s_delay_alu instid0(VALU_DEP_2) | instskip(NEXT) | instid1(VALU_DEP_2)
	v_sub_nc_u16 v42, v40, v42
	v_and_b32_e32 v110, 0xff, v41
	v_lshl_add_u32 v41, v43, 4, 0
	ds_store_b128 v41, v[0:3]
	ds_store_b128 v41, v[8:11] offset:16
	ds_store_b128 v41, v[12:15] offset:32
	;; [unrolled: 1-line block ×9, first 2 shown]
	v_and_b32_e32 v111, 0xff, v42
	v_lshlrev_b32_e32 v42, 6, v110
	global_wb scope:SCOPE_SE
	s_wait_dscnt 0x0
	s_barrier_signal -1
	s_barrier_wait -1
	v_lshlrev_b32_e32 v12, 6, v111
	global_inv scope:SCOPE_SE
	s_clause 0x7
	global_load_b128 v[0:3], v42, s[4:5]
	global_load_b128 v[4:7], v42, s[4:5] offset:16
	global_load_b128 v[8:11], v42, s[4:5] offset:32
	;; [unrolled: 1-line block ×3, first 2 shown]
	global_load_b128 v[17:20], v12, s[4:5]
	global_load_b128 v[21:24], v12, s[4:5] offset:16
	global_load_b128 v[25:28], v12, s[4:5] offset:32
	;; [unrolled: 1-line block ×3, first 2 shown]
	v_mad_i32_i24 v12, 0xffffff70, v255, v41
	ds_load_b128 v[33:36], v12 offset:2720
	ds_load_b128 v[41:44], v12 offset:5440
	;; [unrolled: 1-line block ×8, first 2 shown]
	ds_load_b128 v[37:40], v12
	ds_load_b128 v[74:77], v65
	global_wb scope:SCOPE_SE
	s_wait_loadcnt_dscnt 0x0
	s_barrier_signal -1
	s_barrier_wait -1
	global_inv scope:SCOPE_SE
	v_mul_f64_e32 v[65:66], v[35:36], v[2:3]
	v_mul_f64_e32 v[78:79], v[43:44], v[6:7]
	;; [unrolled: 1-line block ×16, first 2 shown]
	v_fma_f64 v[33:34], v[33:34], v[0:1], -v[65:66]
	v_fma_f64 v[41:42], v[41:42], v[4:5], -v[78:79]
	;; [unrolled: 1-line block ×3, first 2 shown]
	v_fma_f64 v[0:1], v[35:36], v[0:1], v[2:3]
	v_fma_f64 v[2:3], v[49:50], v[13:14], -v[82:83]
	v_fma_f64 v[4:5], v[43:44], v[4:5], v[6:7]
	v_fma_f64 v[6:7], v[47:48], v[8:9], v[10:11]
	;; [unrolled: 1-line block ×3, first 2 shown]
	v_fma_f64 v[10:11], v[53:54], v[17:18], -v[84:85]
	v_fma_f64 v[13:14], v[57:58], v[21:22], -v[86:87]
	;; [unrolled: 1-line block ×3, first 2 shown]
	v_fma_f64 v[17:18], v[55:56], v[17:18], v[19:20]
	v_fma_f64 v[19:20], v[70:71], v[29:30], -v[90:91]
	v_fma_f64 v[21:22], v[59:60], v[21:22], v[23:24]
	v_fma_f64 v[23:24], v[63:64], v[25:26], v[27:28]
	;; [unrolled: 1-line block ×3, first 2 shown]
	v_add_f64_e32 v[53:54], v[37:38], v[33:34]
	v_add_f64_e32 v[27:28], v[41:42], v[45:46]
	;; [unrolled: 1-line block ×4, first 2 shown]
	v_add_f64_e64 v[65:66], v[33:34], -v[2:3]
	v_add_f64_e32 v[31:32], v[4:5], v[6:7]
	v_add_f64_e32 v[35:36], v[0:1], v[8:9]
	;; [unrolled: 1-line block ×3, first 2 shown]
	v_add_f64_e64 v[61:62], v[0:1], -v[8:9]
	v_add_f64_e32 v[43:44], v[13:14], v[15:16]
	v_add_f64_e32 v[59:60], v[76:77], v[17:18]
	;; [unrolled: 1-line block ×3, first 2 shown]
	v_add_f64_e64 v[63:64], v[4:5], -v[6:7]
	v_add_f64_e32 v[49:50], v[21:22], v[23:24]
	v_add_f64_e32 v[51:52], v[17:18], v[25:26]
	v_add_f64_e64 v[70:71], v[17:18], -v[25:26]
	v_add_f64_e64 v[72:73], v[10:11], -v[19:20]
	;; [unrolled: 1-line block ×16, first 2 shown]
	v_fma_f64 v[27:28], v[27:28], -0.5, v[37:38]
	v_add_f64_e32 v[4:5], v[55:56], v[4:5]
	v_fma_f64 v[29:30], v[29:30], -0.5, v[37:38]
	v_add_f64_e64 v[37:38], v[41:42], -v[45:46]
	v_fma_f64 v[31:32], v[31:32], -0.5, v[39:40]
	v_fma_f64 v[35:36], v[35:36], -0.5, v[39:40]
	v_add_f64_e64 v[39:40], v[21:22], -v[23:24]
	v_fma_f64 v[43:44], v[43:44], -0.5, v[74:75]
	v_add_f64_e32 v[21:22], v[59:60], v[21:22]
	v_fma_f64 v[47:48], v[47:48], -0.5, v[74:75]
	v_add_f64_e64 v[74:75], v[13:14], -v[15:16]
	v_fma_f64 v[49:50], v[49:50], -0.5, v[76:77]
	v_fma_f64 v[51:52], v[51:52], -0.5, v[76:77]
	v_add_f64_e64 v[76:77], v[33:34], -v[41:42]
	v_add_f64_e64 v[33:34], v[41:42], -v[33:34]
	v_add_f64_e32 v[41:42], v[53:54], v[41:42]
	v_add_f64_e32 v[13:14], v[57:58], v[13:14]
	;; [unrolled: 1-line block ×3, first 2 shown]
	v_fma_f64 v[53:54], v[61:62], s[0:1], v[27:28]
	v_fma_f64 v[27:28], v[61:62], s[6:7], v[27:28]
	;; [unrolled: 1-line block ×16, first 2 shown]
	v_add_f64_e32 v[76:77], v[76:77], v[78:79]
	v_add_f64_e32 v[33:34], v[33:34], v[80:81]
	;; [unrolled: 1-line block ×11, first 2 shown]
	v_cmp_gt_u32_e64 s0, 50, v255
	v_fma_f64 v[15:16], v[63:64], s[2:3], v[53:54]
	v_fma_f64 v[21:22], v[63:64], s[12:13], v[27:28]
	;; [unrolled: 1-line block ×16, first 2 shown]
	v_add_f64_e32 v[92:93], v[0:1], v[2:3]
	v_add_f64_e32 v[94:95], v[4:5], v[8:9]
	;; [unrolled: 1-line block ×4, first 2 shown]
	v_and_b32_e32 v0, 0xffff, v108
	v_and_b32_e32 v1, 0xffff, v109
	v_lshlrev_b32_e32 v2, 4, v110
	v_lshlrev_b32_e32 v3, 4, v111
                                        ; implicit-def: $vgpr6_vgpr7
	s_delay_alu instid0(VALU_DEP_4) | instskip(NEXT) | instid1(VALU_DEP_4)
	v_mul_u32_u24_e32 v0, 0x320, v0
	v_mul_u32_u24_e32 v1, 0x320, v1
	s_delay_alu instid0(VALU_DEP_2)
	v_add3_u32 v0, 0, v0, v2
	v_fma_f64 v[16:17], v[76:77], s[14:15], v[15:16]
	v_fma_f64 v[24:25], v[76:77], s[14:15], v[21:22]
	;; [unrolled: 1-line block ×16, first 2 shown]
	v_add3_u32 v1, 0, v1, v3
                                        ; implicit-def: $vgpr14_vgpr15
                                        ; implicit-def: $vgpr10_vgpr11
                                        ; implicit-def: $vgpr34_vgpr35
                                        ; implicit-def: $vgpr38_vgpr39
                                        ; implicit-def: $vgpr62_vgpr63
                                        ; implicit-def: $vgpr66_vgpr67
	ds_store_b128 v0, v[92:95]
	ds_store_b128 v0, v[16:19] offset:160
	ds_store_b128 v0, v[20:23] offset:320
	;; [unrolled: 1-line block ×4, first 2 shown]
	ds_store_b128 v1, v[40:43]
	ds_store_b128 v1, v[44:47] offset:160
	ds_store_b128 v1, v[48:51] offset:320
	;; [unrolled: 1-line block ×4, first 2 shown]
	global_wb scope:SCOPE_SE
	s_wait_dscnt 0x0
	s_barrier_signal -1
	s_barrier_wait -1
	global_inv scope:SCOPE_SE
	s_and_saveexec_b32 s1, s0
	s_cbranch_execnz .LBB0_16
; %bb.14:
	s_wait_alu 0xfffe
	s_or_b32 exec_lo, exec_lo, s1
	s_and_b32 s0, vcc_lo, s0
	s_wait_alu 0xfffe
	s_and_saveexec_b32 s1, s0
	s_cbranch_execnz .LBB0_17
.LBB0_15:
	s_endpgm
.LBB0_16:
	ds_load_b128 v[92:95], v12
	ds_load_b128 v[16:19], v12 offset:800
	ds_load_b128 v[20:23], v12 offset:1600
	;; [unrolled: 1-line block ×16, first 2 shown]
	s_wait_alu 0xfffe
	s_or_b32 exec_lo, exec_lo, s1
	s_and_b32 s0, vcc_lo, s0
	s_wait_alu 0xfffe
	s_and_saveexec_b32 s1, s0
	s_cbranch_execz .LBB0_15
.LBB0_17:
	v_dual_mov_b32 v71, 0 :: v_dual_lshlrev_b32 v70, 4, v255
	s_mov_b32 s2, 0x370991
	s_mov_b32 s3, 0x3fedd6d0
	;; [unrolled: 1-line block ×4, first 2 shown]
	v_lshlrev_b64_e32 v[70:71], 4, v[70:71]
	s_mov_b32 s6, 0x2b2883cd
	s_mov_b32 s7, 0x3fdc86fa
	;; [unrolled: 1-line block ×5, first 2 shown]
	v_add_co_u32 v72, vcc_lo, s4, v70
	s_wait_alu 0xfffd
	v_add_co_ci_u32_e32 v73, vcc_lo, s5, v71, vcc_lo
	s_mov_b32 s4, 0x5d8e7cdc
	s_mov_b32 s5, 0xbfd71e95
	s_clause 0x1
	global_load_b128 v[74:77], v[72:73], off offset:752
	global_load_b128 v[78:81], v[72:73], off offset:736
	s_mov_b32 s13, 0x3fb79ee6
	s_mov_b32 s42, 0xeb564b22
	s_mov_b32 s43, 0xbfefdd0d
	s_mov_b32 s16, 0xc61f0d01
	s_mov_b32 s17, 0xbfd183b1
	s_mov_b32 s18, 0x923c349f
	s_mov_b32 s19, 0x3feec746
	s_mov_b32 s25, 0xbfeec746
	s_mov_b32 s24, s18
	s_mov_b32 s20, 0x6ed5f1bb
	s_mov_b32 s21, 0xbfe348c8
	s_mov_b32 s22, 0x6c9a05f6
	s_mov_b32 s23, 0x3fe9895b
	s_mov_b32 s39, 0xbfe9895b
	s_wait_alu 0xfffe
	s_mov_b32 s38, s22
	s_mov_b32 s26, 0x910ea3b9
	;; [unrolled: 1-line block ×6, first 2 shown]
	s_wait_alu 0xfffe
	s_mov_b32 s36, s28
	s_mov_b32 s30, 0x7faef3
	;; [unrolled: 1-line block ×14, first 2 shown]
	s_wait_loadcnt_dscnt 0x108
	v_mul_f64_e32 v[70:71], v[54:55], v[74:75]
	v_mul_f64_e32 v[54:55], v[54:55], v[76:77]
	s_delay_alu instid0(VALU_DEP_2) | instskip(NEXT) | instid1(VALU_DEP_2)
	v_fma_f64 v[98:99], v[52:53], v[76:77], v[70:71]
	v_fma_f64 v[52:53], v[52:53], v[74:75], -v[54:55]
	s_clause 0x1
	global_load_b128 v[74:77], v[72:73], off offset:768
	global_load_b128 v[82:85], v[72:73], off offset:784
	s_wait_loadcnt_dscnt 0x107
	v_mul_f64_e32 v[54:55], v[58:59], v[74:75]
	v_mul_f64_e32 v[58:59], v[58:59], v[76:77]
	s_delay_alu instid0(VALU_DEP_2) | instskip(NEXT) | instid1(VALU_DEP_2)
	v_fma_f64 v[90:91], v[56:57], v[76:77], v[54:55]
	v_fma_f64 v[96:97], v[56:57], v[74:75], -v[58:59]
	v_mul_f64_e32 v[56:57], v[50:51], v[78:79]
	v_mul_f64_e32 v[50:51], v[50:51], v[80:81]
	s_delay_alu instid0(VALU_DEP_4) | instskip(NEXT) | instid1(VALU_DEP_4)
	v_add_f64_e64 v[112:113], v[98:99], -v[90:91]
	v_add_f64_e64 v[239:240], v[52:53], -v[96:97]
	s_delay_alu instid0(VALU_DEP_4) | instskip(NEXT) | instid1(VALU_DEP_4)
	v_fma_f64 v[56:57], v[48:49], v[80:81], v[56:57]
	v_fma_f64 v[48:49], v[48:49], v[78:79], -v[50:51]
	s_clause 0x1
	global_load_b128 v[74:77], v[72:73], off offset:720
	global_load_b128 v[78:81], v[72:73], off offset:704
	s_wait_loadcnt_dscnt 0x206
	v_mul_f64_e32 v[50:51], v[66:67], v[82:83]
	v_mul_f64_e32 v[66:67], v[66:67], v[84:85]
	v_add_f64_e32 v[114:115], v[52:53], v[96:97]
	s_delay_alu instid0(VALU_DEP_3) | instskip(NEXT) | instid1(VALU_DEP_3)
	v_fma_f64 v[50:51], v[64:65], v[84:85], v[50:51]
	v_fma_f64 v[66:67], v[64:65], v[82:83], -v[66:67]
	s_delay_alu instid0(VALU_DEP_2) | instskip(NEXT) | instid1(VALU_DEP_1)
	v_add_f64_e32 v[126:127], v[56:57], v[50:51]
	v_mul_f64_e32 v[124:125], s[0:1], v[126:127]
	s_wait_loadcnt 0x1
	v_mul_f64_e32 v[64:65], v[46:47], v[74:75]
	v_mul_f64_e32 v[46:47], v[46:47], v[76:77]
	s_delay_alu instid0(VALU_DEP_2) | instskip(NEXT) | instid1(VALU_DEP_2)
	v_fma_f64 v[64:65], v[44:45], v[76:77], v[64:65]
	v_fma_f64 v[44:45], v[44:45], v[74:75], -v[46:47]
	s_clause 0x1
	global_load_b128 v[74:77], v[72:73], off offset:800
	global_load_b128 v[82:85], v[72:73], off offset:816
	s_wait_loadcnt_dscnt 0x105
	v_mul_f64_e32 v[46:47], v[62:63], v[74:75]
	v_mul_f64_e32 v[62:63], v[62:63], v[76:77]
	s_delay_alu instid0(VALU_DEP_2) | instskip(NEXT) | instid1(VALU_DEP_2)
	v_fma_f64 v[46:47], v[60:61], v[76:77], v[46:47]
	v_fma_f64 v[62:63], v[60:61], v[74:75], -v[62:63]
	v_mul_f64_e32 v[60:61], v[42:43], v[78:79]
	v_mul_f64_e32 v[42:43], v[42:43], v[80:81]
	s_delay_alu instid0(VALU_DEP_4) | instskip(SKIP_1) | instid1(VALU_DEP_4)
	v_add_f64_e32 v[130:131], v[64:65], v[46:47]
	v_add_f64_e64 v[144:145], v[64:65], -v[46:47]
	v_fma_f64 v[60:61], v[40:41], v[80:81], v[60:61]
	s_delay_alu instid0(VALU_DEP_4)
	v_fma_f64 v[88:89], v[40:41], v[78:79], -v[42:43]
	s_wait_loadcnt_dscnt 0x4
	v_mul_f64_e32 v[42:43], v[38:39], v[82:83]
	v_mul_f64_e32 v[38:39], v[38:39], v[84:85]
	;; [unrolled: 1-line block ×4, first 2 shown]
	s_delay_alu instid0(VALU_DEP_4)
	v_fma_f64 v[74:75], v[36:37], v[84:85], v[42:43]
	s_clause 0x1
	global_load_b128 v[76:79], v[72:73], off offset:672
	global_load_b128 v[84:87], v[72:73], off offset:688
	v_fma_f64 v[36:37], v[36:37], v[82:83], -v[38:39]
	v_add_f64_e64 v[106:107], v[60:61], -v[74:75]
	s_delay_alu instid0(VALU_DEP_2) | instskip(NEXT) | instid1(VALU_DEP_2)
	v_add_f64_e64 v[54:55], v[88:89], -v[36:37]
	v_mul_f64_e32 v[118:119], s[4:5], v[106:107]
	s_wait_loadcnt 0x1
	v_mul_f64_e32 v[38:39], v[30:31], v[76:77]
	v_mul_f64_e32 v[30:31], v[30:31], v[78:79]
	s_delay_alu instid0(VALU_DEP_2) | instskip(NEXT) | instid1(VALU_DEP_2)
	v_fma_f64 v[82:83], v[28:29], v[78:79], v[38:39]
	v_fma_f64 v[76:77], v[28:29], v[76:77], -v[30:31]
	s_clause 0x1
	global_load_b128 v[28:31], v[72:73], off offset:640
	global_load_b128 v[78:81], v[72:73], off offset:656
	s_wait_loadcnt 0x1
	v_mul_f64_e32 v[38:39], v[18:19], v[28:29]
	v_mul_f64_e32 v[18:19], v[18:19], v[30:31]
	s_delay_alu instid0(VALU_DEP_2) | instskip(NEXT) | instid1(VALU_DEP_2)
	v_fma_f64 v[38:39], v[16:17], v[30:31], v[38:39]
	v_fma_f64 v[40:41], v[16:17], v[28:29], -v[18:19]
	s_wait_loadcnt 0x0
	v_mul_f64_e32 v[16:17], v[22:23], v[78:79]
	v_add_f64_e32 v[28:29], v[98:99], v[90:91]
	s_delay_alu instid0(VALU_DEP_2) | instskip(SKIP_1) | instid1(VALU_DEP_1)
	v_fma_f64 v[42:43], v[20:21], v[80:81], v[16:17]
	v_mul_f64_e32 v[16:17], v[22:23], v[80:81]
	v_fma_f64 v[2:3], v[20:21], v[78:79], -v[16:17]
	v_mul_f64_e32 v[16:17], v[26:27], v[84:85]
	s_delay_alu instid0(VALU_DEP_1) | instskip(SKIP_1) | instid1(VALU_DEP_1)
	v_fma_f64 v[78:79], v[24:25], v[86:87], v[16:17]
	v_mul_f64_e32 v[16:17], v[26:27], v[86:87]
	v_fma_f64 v[0:1], v[24:25], v[84:85], -v[16:17]
	s_clause 0x1
	global_load_b128 v[22:25], v[72:73], off offset:832
	global_load_b128 v[16:19], v[72:73], off offset:848
	s_wait_loadcnt_dscnt 0x103
	v_mul_f64_e32 v[26:27], v[34:35], v[22:23]
	s_delay_alu instid0(VALU_DEP_1) | instskip(SKIP_2) | instid1(VALU_DEP_3)
	v_fma_f64 v[80:81], v[32:33], v[24:25], v[26:27]
	v_mul_f64_e32 v[24:25], v[34:35], v[24:25]
	v_add_f64_e32 v[26:27], v[88:89], v[36:37]
	v_add_f64_e32 v[136:137], v[78:79], v[80:81]
	s_delay_alu instid0(VALU_DEP_3)
	v_fma_f64 v[20:21], v[32:33], v[22:23], -v[24:25]
	s_wait_loadcnt_dscnt 0x2
	v_mul_f64_e32 v[22:23], v[10:11], v[16:17]
	v_mul_f64_e32 v[10:11], v[10:11], v[18:19]
	v_add_co_u32 v32, vcc_lo, s10, v68
	s_wait_alu 0xfffd
	v_add_co_ci_u32_e32 v230, vcc_lo, s11, v69, vcc_lo
	s_mov_b32 s10, 0x2a9d6da3
	s_mov_b32 s11, 0xbfe58eea
	v_add_f64_e32 v[24:25], v[44:45], v[62:63]
	v_add_f64_e64 v[134:135], v[78:79], -v[80:81]
	s_wait_alu 0xfffe
	s_mov_b32 s48, s10
	v_mul_f64_e32 v[228:229], s[10:11], v[144:145]
	v_add_f64_e64 v[140:141], v[0:1], -v[20:21]
	v_fma_f64 v[22:23], v[8:9], v[18:19], v[22:23]
	v_fma_f64 v[34:35], v[8:9], v[16:17], -v[10:11]
	global_load_b128 v[8:11], v[72:73], off offset:864
	v_add_f64_e32 v[204:205], v[0:1], v[20:21]
	v_add_f64_e64 v[30:31], v[82:83], -v[22:23]
	v_add_f64_e64 v[132:133], v[76:77], -v[34:35]
	v_add_f64_e32 v[110:111], v[76:77], v[34:35]
	s_wait_loadcnt_dscnt 0x1
	v_mul_f64_e32 v[16:17], v[6:7], v[8:9]
	v_mul_f64_e32 v[6:7], v[6:7], v[10:11]
	s_delay_alu instid0(VALU_DEP_2) | instskip(NEXT) | instid1(VALU_DEP_2)
	v_fma_f64 v[16:17], v[4:5], v[10:11], v[16:17]
	v_fma_f64 v[10:11], v[4:5], v[8:9], -v[6:7]
	global_load_b128 v[4:7], v[72:73], off offset:880
	v_add_f64_e32 v[166:167], v[42:43], v[16:17]
	s_delay_alu instid0(VALU_DEP_1) | instskip(SKIP_2) | instid1(VALU_DEP_1)
	v_mul_f64_e32 v[241:242], s[16:17], v[166:167]
	s_wait_loadcnt_dscnt 0x0
	v_mul_f64_e32 v[8:9], v[14:15], v[4:5]
	v_fma_f64 v[8:9], v[12:13], v[6:7], v[8:9]
	v_mul_f64_e32 v[6:7], v[14:15], v[6:7]
	s_delay_alu instid0(VALU_DEP_2) | instskip(NEXT) | instid1(VALU_DEP_2)
	v_add_f64_e32 v[172:173], v[38:39], v[8:9]
	v_fma_f64 v[12:13], v[12:13], v[4:5], -v[6:7]
	v_add_f64_e32 v[4:5], v[94:95], v[38:39]
	v_add_f64_e32 v[6:7], v[92:93], v[40:41]
	v_add_f64_e64 v[108:109], v[38:39], -v[8:9]
	v_add_f64_e32 v[38:39], v[82:83], v[22:23]
	v_add_f64_e64 v[70:71], v[40:41], -v[12:13]
	v_add_f64_e32 v[4:5], v[42:43], v[4:5]
	v_add_f64_e32 v[6:7], v[2:3], v[6:7]
	v_add_f64_e64 v[42:43], v[42:43], -v[16:17]
	v_add_f64_e32 v[102:103], v[40:41], v[12:13]
	v_mul_f64_e32 v[40:41], s[36:37], v[108:109]
	v_add_f64_e32 v[4:5], v[82:83], v[4:5]
	v_add_f64_e32 v[6:7], v[76:77], v[6:7]
	v_mul_f64_e32 v[58:59], s[18:19], v[42:43]
	s_delay_alu instid0(VALU_DEP_3) | instskip(NEXT) | instid1(VALU_DEP_3)
	v_add_f64_e32 v[4:5], v[78:79], v[4:5]
	v_add_f64_e32 v[6:7], v[0:1], v[6:7]
	v_mul_f64_e32 v[0:1], s[2:3], v[172:173]
	s_delay_alu instid0(VALU_DEP_3) | instskip(NEXT) | instid1(VALU_DEP_3)
	v_add_f64_e32 v[4:5], v[60:61], v[4:5]
	v_add_f64_e32 v[6:7], v[88:89], v[6:7]
	scratch_store_b64 off, v[0:1], off offset:56 ; 8-byte Folded Spill
	v_add_f64_e32 v[4:5], v[64:65], v[4:5]
	v_add_f64_e32 v[6:7], v[44:45], v[6:7]
	s_delay_alu instid0(VALU_DEP_2) | instskip(NEXT) | instid1(VALU_DEP_2)
	v_add_f64_e32 v[4:5], v[56:57], v[4:5]
	v_add_f64_e32 v[6:7], v[48:49], v[6:7]
	s_delay_alu instid0(VALU_DEP_2) | instskip(NEXT) | instid1(VALU_DEP_2)
	;; [unrolled: 3-line block ×8, first 2 shown]
	v_add_f64_e32 v[4:5], v[22:23], v[4:5]
	v_add_f64_e32 v[6:7], v[34:35], v[6:7]
	v_add_f64_e64 v[22:23], v[48:49], -v[66:67]
	v_mul_f64_e32 v[34:35], s[44:45], v[42:43]
	s_delay_alu instid0(VALU_DEP_4) | instskip(NEXT) | instid1(VALU_DEP_4)
	v_add_f64_e32 v[4:5], v[16:17], v[4:5]
	v_add_f64_e32 v[14:15], v[10:11], v[6:7]
	s_delay_alu instid0(VALU_DEP_2) | instskip(NEXT) | instid1(VALU_DEP_2)
	v_add_f64_e32 v[6:7], v[8:9], v[4:5]
	v_add_f64_e32 v[4:5], v[12:13], v[14:15]
	v_mad_co_u64_u32 v[14:15], null, s8, v255, 0
	v_add_f64_e32 v[8:9], v[2:3], v[10:11]
	v_add_f64_e32 v[12:13], v[48:49], v[66:67]
	s_delay_alu instid0(VALU_DEP_3) | instskip(SKIP_1) | instid1(VALU_DEP_2)
	v_mad_co_u64_u32 v[18:19], null, s9, v255, v[15:16]
	v_add_f64_e64 v[16:17], v[44:45], -v[62:63]
	v_mov_b32_e32 v15, v18
	v_add_f64_e64 v[18:19], v[2:3], -v[10:11]
	v_add_f64_e64 v[10:11], v[56:57], -v[50:51]
	v_add_f64_e32 v[2:3], v[60:61], v[74:75]
	v_mov_b32_e32 v20, v54
	v_lshlrev_b64_e32 v[14:15], 4, v[14:15]
	v_mov_b32_e32 v21, v55
	s_delay_alu instid0(VALU_DEP_2) | instskip(SKIP_1) | instid1(VALU_DEP_3)
	v_add_co_u32 v14, vcc_lo, v32, v14
	s_wait_alu 0xfffd
	v_add_co_ci_u32_e32 v15, vcc_lo, v230, v15, vcc_lo
	global_store_b128 v[14:15], v[4:7], off
	v_fma_f64 v[4:5], v[70:71], s[4:5], v[0:1]
	v_mul_f64_e32 v[0:1], s[0:1], v[166:167]
	v_mul_f64_e32 v[116:117], s[2:3], v[2:3]
	s_delay_alu instid0(VALU_DEP_3) | instskip(SKIP_3) | instid1(VALU_DEP_2)
	v_add_f64_e32 v[4:5], v[94:95], v[4:5]
	scratch_store_b64 off, v[0:1], off      ; 8-byte Folded Spill
	v_fma_f64 v[6:7], v[18:19], s[10:11], v[0:1]
	v_mul_f64_e32 v[0:1], s[4:5], v[108:109]
	v_add_f64_e32 v[4:5], v[6:7], v[4:5]
	scratch_store_b64 off, v[0:1], off offset:72 ; 8-byte Folded Spill
	v_fma_f64 v[6:7], v[102:103], s[2:3], -v[0:1]
	v_mul_f64_e32 v[0:1], s[10:11], v[42:43]
	s_delay_alu instid0(VALU_DEP_2) | instskip(SKIP_3) | instid1(VALU_DEP_2)
	v_add_f64_e32 v[6:7], v[92:93], v[6:7]
	scratch_store_b64 off, v[0:1], off offset:8 ; 8-byte Folded Spill
	v_fma_f64 v[44:45], v[8:9], s[0:1], -v[0:1]
	v_mul_f64_e32 v[0:1], s[6:7], v[38:39]
	v_add_f64_e32 v[6:7], v[44:45], v[6:7]
	scratch_store_b64 off, v[0:1], off offset:16 ; 8-byte Folded Spill
	v_fma_f64 v[46:47], v[132:133], s[14:15], v[0:1]
	v_mul_f64_e32 v[0:1], s[14:15], v[30:31]
	v_mul_f64_e32 v[44:45], s[26:27], v[172:173]
	s_delay_alu instid0(VALU_DEP_3) | instskip(SKIP_3) | instid1(VALU_DEP_2)
	v_add_f64_e32 v[4:5], v[46:47], v[4:5]
	scratch_store_b64 off, v[0:1], off offset:24 ; 8-byte Folded Spill
	v_fma_f64 v[48:49], v[110:111], s[6:7], -v[0:1]
	v_mul_f64_e32 v[0:1], s[12:13], v[136:137]
	v_add_f64_e32 v[6:7], v[48:49], v[6:7]
	scratch_store_b64 off, v[0:1], off offset:32 ; 8-byte Folded Spill
	v_fma_f64 v[50:51], v[140:141], s[42:43], v[0:1]
	v_mul_f64_e32 v[0:1], s[42:43], v[134:135]
	s_delay_alu instid0(VALU_DEP_2) | instskip(SKIP_3) | instid1(VALU_DEP_2)
	v_add_f64_e32 v[4:5], v[50:51], v[4:5]
	scratch_store_b64 off, v[0:1], off offset:40 ; 8-byte Folded Spill
	v_fma_f64 v[52:53], v[204:205], s[12:13], -v[0:1]
	v_mul_f64_e32 v[0:1], s[16:17], v[2:3]
	v_add_f64_e32 v[6:7], v[52:53], v[6:7]
	scratch_store_b64 off, v[0:1], off offset:48 ; 8-byte Folded Spill
	v_fma_f64 v[56:57], v[54:55], s[24:25], v[0:1]
	v_mul_f64_e32 v[0:1], s[24:25], v[106:107]
	s_delay_alu instid0(VALU_DEP_2) | instskip(SKIP_4) | instid1(VALU_DEP_3)
	v_add_f64_e32 v[4:5], v[56:57], v[4:5]
	scratch_store_b64 off, v[0:1], off offset:64 ; 8-byte Folded Spill
	v_fma_f64 v[60:61], v[26:27], s[16:17], -v[0:1]
	v_mul_f64_e32 v[0:1], s[20:21], v[130:131]
	v_mul_f64_e32 v[56:57], s[0:1], v[130:131]
	v_add_f64_e32 v[6:7], v[60:61], v[6:7]
	scratch_store_b64 off, v[0:1], off offset:80 ; 8-byte Folded Spill
	v_fma_f64 v[62:63], v[16:17], s[38:39], v[0:1]
	v_mul_f64_e32 v[0:1], s[38:39], v[144:145]
	v_mul_f64_e32 v[60:61], s[38:39], v[108:109]
	s_delay_alu instid0(VALU_DEP_3) | instskip(SKIP_4) | instid1(VALU_DEP_3)
	v_add_f64_e32 v[4:5], v[62:63], v[4:5]
	scratch_store_b64 off, v[0:1], off offset:88 ; 8-byte Folded Spill
	v_fma_f64 v[64:65], v[24:25], s[20:21], -v[0:1]
	v_mul_f64_e32 v[0:1], s[26:27], v[126:127]
	v_mul_f64_e32 v[62:63], s[28:29], v[42:43]
	v_add_f64_e32 v[6:7], v[64:65], v[6:7]
	scratch_store_b64 off, v[0:1], off offset:96 ; 8-byte Folded Spill
	v_fma_f64 v[66:67], v[22:23], s[36:37], v[0:1]
	v_mul_f64_e32 v[0:1], s[36:37], v[10:11]
	v_mul_f64_e32 v[64:65], s[40:41], v[42:43]
	v_fma_f64 v[208:209], v[8:9], s[26:27], -v[62:63]
	s_delay_alu instid0(VALU_DEP_4)
	v_add_f64_e32 v[4:5], v[66:67], v[4:5]
	scratch_store_b64 off, v[0:1], off offset:104 ; 8-byte Folded Spill
	v_fma_f64 v[68:69], v[12:13], s[26:27], -v[0:1]
	v_mul_f64_e32 v[0:1], s[30:31], v[28:29]
	v_mul_f64_e32 v[66:67], s[30:31], v[166:167]
	v_fma_f64 v[176:177], v[8:9], s[30:31], -v[64:65]
	s_delay_alu instid0(VALU_DEP_4) | instskip(SKIP_4) | instid1(VALU_DEP_3)
	v_add_f64_e32 v[72:73], v[68:69], v[6:7]
	scratch_store_b64 off, v[0:1], off offset:112 ; 8-byte Folded Spill
	v_fma_f64 v[6:7], v[239:240], s[40:41], v[0:1]
	v_mul_f64_e32 v[0:1], s[40:41], v[112:113]
	v_mov_b32_e32 v69, v17
	v_add_f64_e32 v[6:7], v[6:7], v[4:5]
	s_delay_alu instid0(VALU_DEP_3) | instskip(SKIP_3) | instid1(VALU_DEP_2)
	v_fma_f64 v[4:5], v[114:115], s[30:31], -v[0:1]
	scratch_store_b64 off, v[0:1], off offset:120 ; 8-byte Folded Spill
	v_add_nc_u32_e32 v0, 50, v255
	v_add_f64_e32 v[4:5], v[4:5], v[72:73]
	v_mad_co_u64_u32 v[72:73], null, s8, v0, 0
	s_delay_alu instid0(VALU_DEP_1) | instskip(SKIP_2) | instid1(VALU_DEP_3)
	v_mad_co_u64_u32 v[73:74], null, s9, v0, v[73:74]
	v_mul_f64_e32 v[0:1], s[0:1], v[172:173]
	v_dual_mov_b32 v74, v112 :: v_dual_mov_b32 v75, v113
	v_lshlrev_b64_e32 v[72:73], 4, v[72:73]
	s_delay_alu instid0(VALU_DEP_2) | instskip(NEXT) | instid1(VALU_DEP_2)
	v_mul_f64_e32 v[46:47], s[44:45], v[74:75]
	v_add_co_u32 v72, vcc_lo, v32, v72
	s_wait_alu 0xfffd
	s_delay_alu instid0(VALU_DEP_3) | instskip(SKIP_2) | instid1(VALU_DEP_1)
	v_add_co_ci_u32_e32 v73, vcc_lo, v230, v73, vcc_lo
	global_store_b128 v[72:73], v[4:7], off
	v_dual_mov_b32 v73, v29 :: v_dual_mov_b32 v72, v28
	v_mul_f64_e32 v[48:49], s[6:7], v[72:73]
	scratch_store_b64 off, v[0:1], off offset:160 ; 8-byte Folded Spill
	v_fma_f64 v[4:5], v[70:71], s[10:11], v[0:1]
	v_mul_f64_e32 v[0:1], s[12:13], v[166:167]
	s_delay_alu instid0(VALU_DEP_2) | instskip(SKIP_3) | instid1(VALU_DEP_2)
	v_add_f64_e32 v[4:5], v[94:95], v[4:5]
	scratch_store_b64 off, v[0:1], off offset:128 ; 8-byte Folded Spill
	v_fma_f64 v[6:7], v[18:19], s[42:43], v[0:1]
	v_mul_f64_e32 v[0:1], s[10:11], v[108:109]
	v_add_f64_e32 v[4:5], v[6:7], v[4:5]
	scratch_store_b64 off, v[0:1], off offset:168 ; 8-byte Folded Spill
	v_fma_f64 v[6:7], v[102:103], s[0:1], -v[0:1]
	v_mul_f64_e32 v[0:1], s[42:43], v[42:43]
	s_delay_alu instid0(VALU_DEP_2) | instskip(SKIP_3) | instid1(VALU_DEP_2)
	v_add_f64_e32 v[6:7], v[92:93], v[6:7]
	scratch_store_b64 off, v[0:1], off offset:136 ; 8-byte Folded Spill
	v_fma_f64 v[76:77], v[8:9], s[12:13], -v[0:1]
	v_mul_f64_e32 v[0:1], s[20:21], v[38:39]
	v_add_f64_e32 v[6:7], v[76:77], v[6:7]
	scratch_store_b64 off, v[0:1], off offset:144 ; 8-byte Folded Spill
	v_fma_f64 v[78:79], v[132:133], s[38:39], v[0:1]
	v_mul_f64_e32 v[0:1], s[38:39], v[30:31]
	v_dual_mov_b32 v77, v31 :: v_dual_mov_b32 v76, v30
	s_delay_alu instid0(VALU_DEP_3) | instskip(SKIP_4) | instid1(VALU_DEP_3)
	v_add_f64_e32 v[4:5], v[78:79], v[4:5]
	scratch_store_b64 off, v[0:1], off offset:152 ; 8-byte Folded Spill
	v_fma_f64 v[80:81], v[110:111], s[20:21], -v[0:1]
	v_mul_f64_e32 v[0:1], s[30:31], v[136:137]
	v_dual_mov_b32 v79, v39 :: v_dual_mov_b32 v78, v38
	v_add_f64_e32 v[6:7], v[80:81], v[6:7]
	scratch_store_b64 off, v[0:1], off offset:176 ; 8-byte Folded Spill
	v_fma_f64 v[82:83], v[140:141], s[40:41], v[0:1]
	v_mul_f64_e32 v[0:1], s[40:41], v[134:135]
	v_mul_f64_e32 v[80:81], s[12:13], v[172:173]
	s_delay_alu instid0(VALU_DEP_3) | instskip(SKIP_4) | instid1(VALU_DEP_3)
	v_add_f64_e32 v[4:5], v[82:83], v[4:5]
	scratch_store_b64 off, v[0:1], off offset:184 ; 8-byte Folded Spill
	v_fma_f64 v[84:85], v[204:205], s[30:31], -v[0:1]
	v_mul_f64_e32 v[0:1], s[26:27], v[2:3]
	v_mul_f64_e32 v[82:83], s[36:37], v[112:113]
	v_add_f64_e32 v[6:7], v[84:85], v[6:7]
	scratch_store_b64 off, v[0:1], off offset:192 ; 8-byte Folded Spill
	v_fma_f64 v[86:87], v[54:55], s[28:29], v[0:1]
	v_mul_f64_e32 v[0:1], s[28:29], v[106:107]
	v_mul_f64_e32 v[84:85], s[14:15], v[108:109]
	s_delay_alu instid0(VALU_DEP_3) | instskip(SKIP_4) | instid1(VALU_DEP_3)
	v_add_f64_e32 v[4:5], v[86:87], v[4:5]
	scratch_store_b64 off, v[0:1], off offset:200 ; 8-byte Folded Spill
	v_fma_f64 v[88:89], v[26:27], s[26:27], -v[0:1]
	v_mul_f64_e32 v[0:1], s[16:17], v[130:131]
	v_mul_f64_e32 v[86:87], s[38:39], v[42:43]
	v_add_f64_e32 v[6:7], v[88:89], v[6:7]
	s_delay_alu instid0(VALU_DEP_3)
	v_fma_f64 v[90:91], v[16:17], s[18:19], v[0:1]
	v_mul_f64_e32 v[88:89], s[46:47], v[112:113]
	scratch_store_b64 off, v[0:1], off offset:208 ; 8-byte Folded Spill
	v_add_nc_u32_e32 v0, 0x64, v255
	v_fma_f64 v[142:143], v[8:9], s[20:21], -v[86:87]
	v_add_f64_e32 v[4:5], v[90:91], v[4:5]
	v_mul_f64_e32 v[90:91], s[18:19], v[144:145]
	s_delay_alu instid0(VALU_DEP_1) | instskip(NEXT) | instid1(VALU_DEP_1)
	v_fma_f64 v[96:97], v[24:25], s[16:17], -v[90:91]
	v_add_f64_e32 v[6:7], v[96:97], v[6:7]
	v_mul_f64_e32 v[96:97], s[6:7], v[126:127]
	s_delay_alu instid0(VALU_DEP_1) | instskip(NEXT) | instid1(VALU_DEP_1)
	v_fma_f64 v[98:99], v[22:23], s[44:45], v[96:97]
	v_add_f64_e32 v[4:5], v[98:99], v[4:5]
	v_mul_f64_e32 v[98:99], s[44:45], v[10:11]
	s_delay_alu instid0(VALU_DEP_1) | instskip(NEXT) | instid1(VALU_DEP_1)
	v_fma_f64 v[100:101], v[12:13], s[6:7], -v[98:99]
	v_add_f64_e32 v[104:105], v[100:101], v[6:7]
	v_mul_f64_e32 v[100:101], s[2:3], v[28:29]
	s_delay_alu instid0(VALU_DEP_1) | instskip(NEXT) | instid1(VALU_DEP_1)
	v_fma_f64 v[6:7], v[239:240], s[46:47], v[100:101]
	v_add_f64_e32 v[6:7], v[6:7], v[4:5]
	v_fma_f64 v[4:5], v[114:115], s[2:3], -v[88:89]
	s_delay_alu instid0(VALU_DEP_1) | instskip(SKIP_1) | instid1(VALU_DEP_1)
	v_add_f64_e32 v[4:5], v[4:5], v[104:105]
	v_mad_co_u64_u32 v[104:105], null, s8, v0, 0
	v_mad_co_u64_u32 v[138:139], null, s9, v0, v[105:106]
	s_delay_alu instid0(VALU_DEP_1) | instskip(SKIP_1) | instid1(VALU_DEP_2)
	v_dual_mov_b32 v105, v138 :: v_dual_add_nc_u32 v0, 0x96, v255
	v_mul_f64_e32 v[138:139], s[20:21], v[166:167]
	v_lshlrev_b64_e32 v[104:105], 4, v[104:105]
	s_delay_alu instid0(VALU_DEP_1) | instskip(SKIP_1) | instid1(VALU_DEP_2)
	v_add_co_u32 v104, vcc_lo, v32, v104
	s_wait_alu 0xfffd
	v_add_co_ci_u32_e32 v105, vcc_lo, v230, v105, vcc_lo
	global_store_b128 v[104:105], v[4:7], off
	v_mul_f64_e32 v[104:105], s[6:7], v[172:173]
	v_fma_f64 v[6:7], v[18:19], s[38:39], v[138:139]
	s_delay_alu instid0(VALU_DEP_2) | instskip(NEXT) | instid1(VALU_DEP_1)
	v_fma_f64 v[4:5], v[70:71], s[14:15], v[104:105]
	v_add_f64_e32 v[4:5], v[94:95], v[4:5]
	s_delay_alu instid0(VALU_DEP_1) | instskip(SKIP_1) | instid1(VALU_DEP_1)
	v_add_f64_e32 v[4:5], v[6:7], v[4:5]
	v_fma_f64 v[6:7], v[102:103], s[6:7], -v[84:85]
	v_add_f64_e32 v[6:7], v[92:93], v[6:7]
	s_delay_alu instid0(VALU_DEP_1) | instskip(SKIP_1) | instid1(VALU_DEP_1)
	v_add_f64_e32 v[6:7], v[142:143], v[6:7]
	v_mul_f64_e32 v[142:143], s[30:31], v[38:39]
	v_fma_f64 v[146:147], v[132:133], s[34:35], v[142:143]
	s_delay_alu instid0(VALU_DEP_1) | instskip(SKIP_1) | instid1(VALU_DEP_1)
	v_add_f64_e32 v[4:5], v[146:147], v[4:5]
	v_mul_f64_e32 v[146:147], s[34:35], v[30:31]
	v_fma_f64 v[148:149], v[110:111], s[30:31], -v[146:147]
	s_delay_alu instid0(VALU_DEP_1) | instskip(SKIP_1) | instid1(VALU_DEP_1)
	v_add_f64_e32 v[6:7], v[148:149], v[6:7]
	v_mul_f64_e32 v[148:149], s[16:17], v[136:137]
	v_fma_f64 v[150:151], v[140:141], s[18:19], v[148:149]
	s_delay_alu instid0(VALU_DEP_1) | instskip(SKIP_1) | instid1(VALU_DEP_1)
	v_add_f64_e32 v[4:5], v[150:151], v[4:5]
	v_mul_f64_e32 v[150:151], s[18:19], v[134:135]
	v_fma_f64 v[152:153], v[204:205], s[16:17], -v[150:151]
	s_delay_alu instid0(VALU_DEP_1) | instskip(SKIP_1) | instid1(VALU_DEP_1)
	v_add_f64_e32 v[6:7], v[152:153], v[6:7]
	v_mul_f64_e32 v[152:153], s[0:1], v[2:3]
	v_fma_f64 v[154:155], v[54:55], s[48:49], v[152:153]
	v_mul_f64_e32 v[54:55], s[30:31], v[126:127]
	s_delay_alu instid0(VALU_DEP_2) | instskip(SKIP_1) | instid1(VALU_DEP_1)
	v_add_f64_e32 v[4:5], v[154:155], v[4:5]
	v_mul_f64_e32 v[154:155], s[48:49], v[106:107]
	v_fma_f64 v[156:157], v[26:27], s[0:1], -v[154:155]
	s_delay_alu instid0(VALU_DEP_1) | instskip(SKIP_1) | instid1(VALU_DEP_1)
	v_add_f64_e32 v[6:7], v[156:157], v[6:7]
	v_mul_f64_e32 v[156:157], s[2:3], v[130:131]
	v_fma_f64 v[158:159], v[16:17], s[4:5], v[156:157]
	s_delay_alu instid0(VALU_DEP_1) | instskip(SKIP_1) | instid1(VALU_DEP_1)
	v_add_f64_e32 v[4:5], v[158:159], v[4:5]
	v_mul_f64_e32 v[158:159], s[4:5], v[144:145]
	v_fma_f64 v[160:161], v[24:25], s[2:3], -v[158:159]
	s_delay_alu instid0(VALU_DEP_1) | instskip(SKIP_1) | instid1(VALU_DEP_1)
	v_add_f64_e32 v[6:7], v[160:161], v[6:7]
	v_mul_f64_e32 v[160:161], s[12:13], v[126:127]
	v_fma_f64 v[162:163], v[22:23], s[42:43], v[160:161]
	s_delay_alu instid0(VALU_DEP_1) | instskip(SKIP_1) | instid1(VALU_DEP_1)
	;; [unrolled: 8-line block ×3, first 2 shown]
	v_add_f64_e32 v[6:7], v[6:7], v[4:5]
	v_fma_f64 v[4:5], v[114:115], s[26:27], -v[82:83]
	v_add_f64_e32 v[4:5], v[4:5], v[168:169]
	v_mad_co_u64_u32 v[168:169], null, s8, v0, 0
	s_delay_alu instid0(VALU_DEP_1) | instskip(SKIP_2) | instid1(VALU_DEP_3)
	v_mad_co_u64_u32 v[169:170], null, s9, v0, v[169:170]
	v_fma_f64 v[170:171], v[18:19], s[40:41], v[66:67]
	v_add_nc_u32_e32 v0, 0xc8, v255
	v_lshlrev_b64_e32 v[168:169], 4, v[168:169]
	s_delay_alu instid0(VALU_DEP_1) | instskip(SKIP_1) | instid1(VALU_DEP_2)
	v_add_co_u32 v168, vcc_lo, v32, v168
	s_wait_alu 0xfffd
	v_add_co_ci_u32_e32 v169, vcc_lo, v230, v169, vcc_lo
	global_store_b128 v[168:169], v[4:7], off
	v_fma_f64 v[6:7], v[70:71], s[42:43], v[80:81]
	v_dual_mov_b32 v4, v10 :: v_dual_mov_b32 v5, v11
	v_mov_b32_e32 v68, v16
	s_delay_alu instid0(VALU_DEP_2) | instskip(NEXT) | instid1(VALU_DEP_4)
	v_mul_f64_e32 v[52:53], s[40:41], v[4:5]
	v_add_f64_e32 v[168:169], v[94:95], v[6:7]
	v_dual_mov_b32 v6, v22 :: v_dual_mov_b32 v7, v23
	s_delay_alu instid0(VALU_DEP_2) | instskip(SKIP_1) | instid1(VALU_DEP_1)
	v_add_f64_e32 v[174:175], v[170:171], v[168:169]
	v_mul_f64_e32 v[168:169], s[42:43], v[108:109]
	v_fma_f64 v[170:171], v[102:103], s[12:13], -v[168:169]
	s_delay_alu instid0(VALU_DEP_1) | instskip(NEXT) | instid1(VALU_DEP_1)
	v_add_f64_e32 v[170:171], v[92:93], v[170:171]
	v_add_f64_e32 v[176:177], v[176:177], v[170:171]
	v_mul_f64_e32 v[170:171], s[16:17], v[38:39]
	s_delay_alu instid0(VALU_DEP_1) | instskip(NEXT) | instid1(VALU_DEP_1)
	v_fma_f64 v[178:179], v[132:133], s[18:19], v[170:171]
	v_add_f64_e32 v[178:179], v[178:179], v[174:175]
	v_mul_f64_e32 v[174:175], s[18:19], v[30:31]
	s_delay_alu instid0(VALU_DEP_1) | instskip(NEXT) | instid1(VALU_DEP_1)
	v_fma_f64 v[180:181], v[110:111], s[16:17], -v[174:175]
	v_add_f64_e32 v[180:181], v[180:181], v[176:177]
	v_mul_f64_e32 v[176:177], s[2:3], v[136:137]
	s_delay_alu instid0(VALU_DEP_1) | instskip(NEXT) | instid1(VALU_DEP_1)
	v_fma_f64 v[182:183], v[140:141], s[46:47], v[176:177]
	v_add_f64_e32 v[182:183], v[182:183], v[178:179]
	v_mul_f64_e32 v[178:179], s[46:47], v[134:135]
	s_delay_alu instid0(VALU_DEP_1) | instskip(NEXT) | instid1(VALU_DEP_1)
	v_fma_f64 v[184:185], v[204:205], s[2:3], -v[178:179]
	v_add_f64_e32 v[184:185], v[184:185], v[180:181]
	v_mul_f64_e32 v[180:181], s[6:7], v[2:3]
	s_delay_alu instid0(VALU_DEP_1) | instskip(NEXT) | instid1(VALU_DEP_1)
	v_fma_f64 v[186:187], v[20:21], s[14:15], v[180:181]
	v_add_f64_e32 v[186:187], v[186:187], v[182:183]
	v_mul_f64_e32 v[182:183], s[14:15], v[106:107]
	s_delay_alu instid0(VALU_DEP_1) | instskip(NEXT) | instid1(VALU_DEP_1)
	v_fma_f64 v[188:189], v[26:27], s[6:7], -v[182:183]
	v_add_f64_e32 v[188:189], v[188:189], v[184:185]
	v_mul_f64_e32 v[184:185], s[26:27], v[130:131]
	s_delay_alu instid0(VALU_DEP_1) | instskip(NEXT) | instid1(VALU_DEP_1)
	v_fma_f64 v[190:191], v[16:17], s[36:37], v[184:185]
	v_add_f64_e32 v[190:191], v[190:191], v[186:187]
	v_mul_f64_e32 v[186:187], s[36:37], v[144:145]
	s_delay_alu instid0(VALU_DEP_1) | instskip(NEXT) | instid1(VALU_DEP_1)
	v_fma_f64 v[192:193], v[24:25], s[26:27], -v[186:187]
	v_add_f64_e32 v[192:193], v[192:193], v[188:189]
	v_mul_f64_e32 v[188:189], s[20:21], v[126:127]
	s_delay_alu instid0(VALU_DEP_1) | instskip(NEXT) | instid1(VALU_DEP_1)
	v_fma_f64 v[194:195], v[22:23], s[22:23], v[188:189]
	v_add_f64_e32 v[194:195], v[194:195], v[190:191]
	v_mul_f64_e32 v[190:191], s[22:23], v[10:11]
	v_dual_mov_b32 v11, v9 :: v_dual_mov_b32 v10, v8
	v_dual_mov_b32 v8, v24 :: v_dual_mov_b32 v9, v25
	s_delay_alu instid0(VALU_DEP_2) | instskip(NEXT) | instid1(VALU_DEP_3)
	v_mov_b32_e32 v15, v11
	v_fma_f64 v[243:244], v[10:11], s[16:17], -v[58:59]
	v_fma_f64 v[196:197], v[12:13], s[20:21], -v[190:191]
	s_delay_alu instid0(VALU_DEP_1) | instskip(SKIP_1) | instid1(VALU_DEP_1)
	v_add_f64_e32 v[196:197], v[196:197], v[192:193]
	v_mul_f64_e32 v[192:193], s[0:1], v[28:29]
	v_fma_f64 v[198:199], v[239:240], s[48:49], v[192:193]
	s_delay_alu instid0(VALU_DEP_1) | instskip(SKIP_1) | instid1(VALU_DEP_1)
	v_add_f64_e32 v[198:199], v[198:199], v[194:195]
	v_mul_f64_e32 v[194:195], s[48:49], v[112:113]
	v_fma_f64 v[200:201], v[114:115], s[0:1], -v[194:195]
	s_delay_alu instid0(VALU_DEP_1) | instskip(SKIP_1) | instid1(VALU_DEP_1)
	v_add_f64_e32 v[196:197], v[200:201], v[196:197]
	v_mad_co_u64_u32 v[200:201], null, s8, v0, 0
	v_mad_co_u64_u32 v[201:202], null, s9, v0, v[201:202]
	v_add_nc_u32_e32 v0, 0xfa, v255
	s_delay_alu instid0(VALU_DEP_2) | instskip(NEXT) | instid1(VALU_DEP_1)
	v_lshlrev_b64_e32 v[200:201], 4, v[200:201]
	v_add_co_u32 v200, vcc_lo, v32, v200
	s_wait_alu 0xfffd
	s_delay_alu instid0(VALU_DEP_2) | instskip(SKIP_2) | instid1(VALU_DEP_1)
	v_add_co_ci_u32_e32 v201, vcc_lo, v230, v201, vcc_lo
	global_store_b128 v[200:201], v[196:199], off
	v_mul_f64_e32 v[196:197], s[16:17], v[172:173]
	v_fma_f64 v[198:199], v[70:71], s[24:25], v[196:197]
	s_delay_alu instid0(VALU_DEP_1) | instskip(SKIP_1) | instid1(VALU_DEP_1)
	v_add_f64_e32 v[200:201], v[94:95], v[198:199]
	v_mul_f64_e32 v[198:199], s[26:27], v[166:167]
	v_fma_f64 v[202:203], v[18:19], s[28:29], v[198:199]
	s_delay_alu instid0(VALU_DEP_1) | instskip(SKIP_1) | instid1(VALU_DEP_1)
	v_add_f64_e32 v[206:207], v[202:203], v[200:201]
	v_mul_f64_e32 v[200:201], s[24:25], v[108:109]
	v_fma_f64 v[202:203], v[102:103], s[16:17], -v[200:201]
	s_delay_alu instid0(VALU_DEP_1) | instskip(NEXT) | instid1(VALU_DEP_1)
	v_add_f64_e32 v[202:203], v[92:93], v[202:203]
	v_add_f64_e32 v[208:209], v[208:209], v[202:203]
	v_mul_f64_e32 v[202:203], s[0:1], v[38:39]
	v_mul_f64_e32 v[38:39], s[6:7], v[166:167]
	s_delay_alu instid0(VALU_DEP_2) | instskip(NEXT) | instid1(VALU_DEP_1)
	v_fma_f64 v[210:211], v[132:133], s[48:49], v[202:203]
	v_add_f64_e32 v[210:211], v[210:211], v[206:207]
	v_mul_f64_e32 v[206:207], s[48:49], v[30:31]
	s_delay_alu instid0(VALU_DEP_1) | instskip(NEXT) | instid1(VALU_DEP_1)
	v_fma_f64 v[212:213], v[110:111], s[0:1], -v[206:207]
	v_add_f64_e32 v[212:213], v[212:213], v[208:209]
	v_mul_f64_e32 v[208:209], s[6:7], v[136:137]
	s_delay_alu instid0(VALU_DEP_1) | instskip(NEXT) | instid1(VALU_DEP_1)
	v_fma_f64 v[214:215], v[140:141], s[14:15], v[208:209]
	v_add_f64_e32 v[214:215], v[214:215], v[210:211]
	v_mul_f64_e32 v[210:211], s[14:15], v[134:135]
	s_delay_alu instid0(VALU_DEP_1) | instskip(NEXT) | instid1(VALU_DEP_1)
	v_fma_f64 v[216:217], v[204:205], s[6:7], -v[210:211]
	v_add_f64_e32 v[216:217], v[216:217], v[212:213]
	v_mul_f64_e32 v[212:213], s[30:31], v[2:3]
	s_delay_alu instid0(VALU_DEP_1) | instskip(NEXT) | instid1(VALU_DEP_1)
	v_fma_f64 v[218:219], v[20:21], s[40:41], v[212:213]
	v_add_f64_e32 v[218:219], v[218:219], v[214:215]
	v_mul_f64_e32 v[214:215], s[40:41], v[106:107]
	s_delay_alu instid0(VALU_DEP_1) | instskip(NEXT) | instid1(VALU_DEP_1)
	v_fma_f64 v[220:221], v[26:27], s[30:31], -v[214:215]
	v_add_f64_e32 v[220:221], v[220:221], v[216:217]
	v_mul_f64_e32 v[216:217], s[12:13], v[130:131]
	v_mul_f64_e32 v[130:131], s[6:7], v[130:131]
	s_delay_alu instid0(VALU_DEP_2) | instskip(SKIP_2) | instid1(VALU_DEP_3)
	v_fma_f64 v[222:223], v[16:17], s[50:51], v[216:217]
	v_dual_mov_b32 v17, v5 :: v_dual_mov_b32 v16, v4
	v_mov_b32_e32 v14, v10
	v_add_f64_e32 v[222:223], v[222:223], v[218:219]
	v_mul_f64_e32 v[218:219], s[50:51], v[144:145]
	v_mul_f64_e32 v[144:145], s[44:45], v[144:145]
	s_delay_alu instid0(VALU_DEP_2) | instskip(SKIP_1) | instid1(VALU_DEP_2)
	v_fma_f64 v[224:225], v[24:25], s[12:13], -v[218:219]
	v_mul_f64_e32 v[24:25], s[42:43], v[76:77]
	v_add_f64_e32 v[224:225], v[224:225], v[220:221]
	v_mul_f64_e32 v[220:221], s[2:3], v[126:127]
	s_delay_alu instid0(VALU_DEP_1) | instskip(NEXT) | instid1(VALU_DEP_1)
	v_fma_f64 v[226:227], v[22:23], s[4:5], v[220:221]
	v_add_f64_e32 v[226:227], v[226:227], v[222:223]
	v_mul_f64_e32 v[222:223], s[4:5], v[4:5]
	v_dual_mov_b32 v4, v114 :: v_dual_mov_b32 v5, v115
	v_mul_f64_e32 v[22:23], s[48:49], v[16:17]
	s_delay_alu instid0(VALU_DEP_3) | instskip(NEXT) | instid1(VALU_DEP_1)
	v_fma_f64 v[231:232], v[12:13], s[2:3], -v[222:223]
	v_add_f64_e32 v[231:232], v[231:232], v[224:225]
	v_mul_f64_e32 v[224:225], s[20:21], v[28:29]
	v_add_nc_u32_e32 v28, 0x15e, v255
	s_delay_alu instid0(VALU_DEP_2) | instskip(NEXT) | instid1(VALU_DEP_1)
	v_fma_f64 v[233:234], v[239:240], s[38:39], v[224:225]
	v_add_f64_e32 v[233:234], v[233:234], v[226:227]
	v_mul_f64_e32 v[226:227], s[38:39], v[112:113]
	v_mul_f64_e32 v[112:113], s[20:21], v[136:137]
	s_delay_alu instid0(VALU_DEP_2) | instskip(SKIP_1) | instid1(VALU_DEP_2)
	v_fma_f64 v[235:236], v[114:115], s[20:21], -v[226:227]
	v_mul_f64_e32 v[114:115], s[22:23], v[134:135]
	v_add_f64_e32 v[231:232], v[235:236], v[231:232]
	v_mad_co_u64_u32 v[235:236], null, s8, v0, 0
	s_delay_alu instid0(VALU_DEP_1) | instskip(SKIP_2) | instid1(VALU_DEP_3)
	v_mad_co_u64_u32 v[236:237], null, s9, v0, v[236:237]
	v_dual_mov_b32 v238, v109 :: v_dual_mov_b32 v237, v108
	v_add_nc_u32_e32 v0, 0x12c, v255
	v_lshlrev_b64_e32 v[235:236], 4, v[235:236]
	s_delay_alu instid0(VALU_DEP_1) | instskip(SKIP_1) | instid1(VALU_DEP_2)
	v_add_co_u32 v235, vcc_lo, v32, v235
	s_wait_alu 0xfffd
	v_add_co_ci_u32_e32 v236, vcc_lo, v230, v236, vcc_lo
	global_store_b128 v[235:236], v[231:234], off
	v_mul_f64_e32 v[235:236], s[20:21], v[172:173]
	v_fma_f64 v[233:234], v[18:19], s[18:19], v[241:242]
	s_delay_alu instid0(VALU_DEP_2) | instskip(NEXT) | instid1(VALU_DEP_1)
	v_fma_f64 v[231:232], v[70:71], s[38:39], v[235:236]
	v_add_f64_e32 v[231:232], v[94:95], v[231:232]
	s_delay_alu instid0(VALU_DEP_1) | instskip(SKIP_1) | instid1(VALU_DEP_1)
	v_add_f64_e32 v[231:232], v[233:234], v[231:232]
	v_fma_f64 v[233:234], v[102:103], s[20:21], -v[60:61]
	v_add_f64_e32 v[233:234], v[92:93], v[233:234]
	s_delay_alu instid0(VALU_DEP_1) | instskip(SKIP_1) | instid1(VALU_DEP_1)
	v_add_f64_e32 v[233:234], v[243:244], v[233:234]
	v_mul_f64_e32 v[243:244], s[2:3], v[78:79]
	v_fma_f64 v[245:246], v[132:133], s[4:5], v[243:244]
	s_delay_alu instid0(VALU_DEP_1) | instskip(SKIP_1) | instid1(VALU_DEP_1)
	v_add_f64_e32 v[231:232], v[245:246], v[231:232]
	v_mul_f64_e32 v[245:246], s[4:5], v[76:77]
	v_fma_f64 v[247:248], v[110:111], s[2:3], -v[245:246]
	s_delay_alu instid0(VALU_DEP_1) | instskip(SKIP_1) | instid1(VALU_DEP_1)
	v_add_f64_e32 v[233:234], v[247:248], v[233:234]
	v_mul_f64_e32 v[247:248], s[26:27], v[136:137]
	v_fma_f64 v[249:250], v[140:141], s[36:37], v[247:248]
	s_delay_alu instid0(VALU_DEP_1) | instskip(SKIP_2) | instid1(VALU_DEP_2)
	v_add_f64_e32 v[231:232], v[249:250], v[231:232]
	v_mul_f64_e32 v[249:250], s[36:37], v[134:135]
	v_mul_f64_e32 v[134:135], s[48:49], v[134:135]
	v_fma_f64 v[251:252], v[204:205], s[26:27], -v[249:250]
	s_delay_alu instid0(VALU_DEP_1) | instskip(SKIP_2) | instid1(VALU_DEP_2)
	v_add_f64_e32 v[233:234], v[251:252], v[233:234]
	v_mul_f64_e32 v[251:252], s[12:13], v[2:3]
	v_mul_f64_e32 v[2:3], s[20:21], v[2:3]
	v_fma_f64 v[253:254], v[20:21], s[50:51], v[251:252]
	s_delay_alu instid0(VALU_DEP_1) | instskip(SKIP_1) | instid1(VALU_DEP_1)
	v_add_f64_e32 v[231:232], v[253:254], v[231:232]
	v_mul_f64_e32 v[253:254], s[50:51], v[106:107]
	v_fma_f64 v[36:37], v[26:27], s[12:13], -v[253:254]
	s_delay_alu instid0(VALU_DEP_1) | instskip(SKIP_1) | instid1(VALU_DEP_1)
	v_add_f64_e32 v[36:37], v[36:37], v[233:234]
	v_fma_f64 v[233:234], v[68:69], s[10:11], v[56:57]
	v_add_f64_e32 v[231:232], v[233:234], v[231:232]
	v_fma_f64 v[233:234], v[8:9], s[0:1], -v[228:229]
	s_delay_alu instid0(VALU_DEP_1) | instskip(SKIP_1) | instid1(VALU_DEP_1)
	v_add_f64_e32 v[36:37], v[233:234], v[36:37]
	v_fma_f64 v[233:234], v[6:7], s[40:41], v[54:55]
	v_add_f64_e32 v[231:232], v[233:234], v[231:232]
	;; [unrolled: 5-line block ×3, first 2 shown]
	v_fma_f64 v[231:232], v[4:5], s[6:7], -v[46:47]
	s_delay_alu instid0(VALU_DEP_1) | instskip(SKIP_1) | instid1(VALU_DEP_1)
	v_add_f64_e32 v[231:232], v[231:232], v[36:37]
	v_mad_co_u64_u32 v[36:37], null, s8, v0, 0
	v_mov_b32_e32 v29, v37
	v_mul_f64_e32 v[128:129], s[16:17], v[72:73]
	s_delay_alu instid0(VALU_DEP_2) | instskip(SKIP_1) | instid1(VALU_DEP_2)
	v_mad_co_u64_u32 v[50:51], null, s9, v0, v[29:30]
	v_dual_mov_b32 v0, v30 :: v_dual_mov_b32 v1, v31
	v_mov_b32_e32 v37, v50
	v_fma_f64 v[50:51], v[70:71], s[36:37], v[44:45]
	v_mov_b32_e32 v109, v75
	s_delay_alu instid0(VALU_DEP_3) | instskip(NEXT) | instid1(VALU_DEP_1)
	v_lshlrev_b64_e32 v[36:37], 4, v[36:37]
	v_add_co_u32 v36, vcc_lo, v32, v36
	s_wait_alu 0xfffd
	s_delay_alu instid0(VALU_DEP_2)
	v_add_co_ci_u32_e32 v37, vcc_lo, v230, v37, vcc_lo
	global_store_b128 v[36:37], v[231:234], off
	v_fma_f64 v[231:232], v[18:19], s[44:45], v[38:39]
	v_fma_f64 v[233:234], v[10:11], s[6:7], -v[34:35]
	v_mul_f64_e32 v[36:37], s[12:13], v[78:79]
	v_dual_mov_b32 v10, v68 :: v_dual_mov_b32 v11, v69
	v_add_f64_e32 v[50:51], v[94:95], v[50:51]
	s_delay_alu instid0(VALU_DEP_1) | instskip(SKIP_1) | instid1(VALU_DEP_1)
	v_add_f64_e32 v[50:51], v[231:232], v[50:51]
	v_fma_f64 v[231:232], v[102:103], s[26:27], -v[40:41]
	v_add_f64_e32 v[231:232], v[92:93], v[231:232]
	s_delay_alu instid0(VALU_DEP_1) | instskip(SKIP_1) | instid1(VALU_DEP_1)
	v_add_f64_e32 v[231:232], v[233:234], v[231:232]
	v_fma_f64 v[233:234], v[132:133], s[42:43], v[36:37]
	v_add_f64_e32 v[50:51], v[233:234], v[50:51]
	v_fma_f64 v[233:234], v[110:111], s[12:13], -v[24:25]
	s_delay_alu instid0(VALU_DEP_1) | instskip(SKIP_1) | instid1(VALU_DEP_1)
	v_add_f64_e32 v[231:232], v[233:234], v[231:232]
	v_fma_f64 v[233:234], v[140:141], s[22:23], v[112:113]
	v_add_f64_e32 v[50:51], v[233:234], v[50:51]
	v_fma_f64 v[233:234], v[204:205], s[20:21], -v[114:115]
	;; [unrolled: 5-line block ×5, first 2 shown]
	s_delay_alu instid0(VALU_DEP_1) | instskip(SKIP_1) | instid1(VALU_DEP_1)
	v_add_f64_e32 v[231:232], v[233:234], v[231:232]
	v_fma_f64 v[233:234], v[239:240], s[24:25], v[128:129]
	v_add_f64_e32 v[233:234], v[233:234], v[50:51]
	v_mul_f64_e32 v[50:51], s[24:25], v[74:75]
	s_delay_alu instid0(VALU_DEP_1) | instskip(NEXT) | instid1(VALU_DEP_1)
	v_fma_f64 v[68:69], v[4:5], s[16:17], -v[50:51]
	v_add_f64_e32 v[231:232], v[68:69], v[231:232]
	v_mad_co_u64_u32 v[68:69], null, s8, v28, 0
	v_dual_mov_b32 v30, v72 :: v_dual_mov_b32 v31, v73
	s_delay_alu instid0(VALU_DEP_2) | instskip(NEXT) | instid1(VALU_DEP_1)
	v_mov_b32_e32 v29, v69
	v_mad_co_u64_u32 v[72:73], null, s9, v28, v[29:30]
	v_mov_b32_e32 v108, v74
	v_mul_f64_e32 v[28:29], s[24:25], v[16:17]
	s_delay_alu instid0(VALU_DEP_3) | instskip(SKIP_1) | instid1(VALU_DEP_2)
	v_mov_b32_e32 v69, v72
	v_mul_f64_e32 v[72:73], s[2:3], v[166:167]
	v_lshlrev_b64_e32 v[68:69], 4, v[68:69]
	s_delay_alu instid0(VALU_DEP_1) | instskip(SKIP_1) | instid1(VALU_DEP_2)
	v_add_co_u32 v68, vcc_lo, v32, v68
	s_wait_alu 0xfffd
	v_add_co_ci_u32_e32 v69, vcc_lo, v230, v69, vcc_lo
	global_store_b128 v[68:69], v[231:234], off
	v_mul_f64_e32 v[68:69], s[30:31], v[172:173]
	v_mul_f64_e32 v[231:232], s[46:47], v[42:43]
	v_dual_mov_b32 v43, v15 :: v_dual_mov_b32 v42, v14
	v_fma_f64 v[172:173], v[18:19], s[46:47], v[72:73]
	v_fma_f64 v[72:73], v[18:19], s[4:5], v[72:73]
	;; [unrolled: 1-line block ×3, first 2 shown]
	v_fma_f64 v[74:75], v[14:15], s[2:3], -v[231:232]
	v_fma_f64 v[68:69], v[70:71], s[34:35], v[68:69]
	s_delay_alu instid0(VALU_DEP_3) | instskip(NEXT) | instid1(VALU_DEP_2)
	v_add_f64_e32 v[166:167], v[94:95], v[166:167]
	v_add_f64_e32 v[68:69], v[94:95], v[68:69]
	s_delay_alu instid0(VALU_DEP_2) | instskip(SKIP_4) | instid1(VALU_DEP_4)
	v_add_f64_e32 v[166:167], v[172:173], v[166:167]
	v_mul_f64_e32 v[172:173], s[40:41], v[237:238]
	v_mul_f64_e32 v[237:238], s[12:13], v[30:31]
	;; [unrolled: 1-line block ×3, first 2 shown]
	v_add_f64_e32 v[68:69], v[72:73], v[68:69]
	v_fma_f64 v[233:234], v[102:103], s[30:31], -v[172:173]
	v_fma_f64 v[72:73], v[102:103], s[30:31], v[172:173]
	s_delay_alu instid0(VALU_DEP_2) | instskip(NEXT) | instid1(VALU_DEP_2)
	v_add_f64_e32 v[233:234], v[92:93], v[233:234]
	v_add_f64_e32 v[72:73], v[92:93], v[72:73]
	s_delay_alu instid0(VALU_DEP_2) | instskip(SKIP_1) | instid1(VALU_DEP_1)
	v_add_f64_e32 v[74:75], v[74:75], v[233:234]
	v_mul_f64_e32 v[233:234], s[26:27], v[78:79]
	v_fma_f64 v[76:77], v[132:133], s[36:37], v[233:234]
	s_delay_alu instid0(VALU_DEP_1) | instskip(SKIP_2) | instid1(VALU_DEP_2)
	v_add_f64_e32 v[76:77], v[76:77], v[166:167]
	v_mul_f64_e32 v[166:167], s[36:37], v[0:1]
	v_mul_f64_e32 v[0:1], s[16:17], v[126:127]
	v_fma_f64 v[78:79], v[110:111], s[26:27], -v[166:167]
	s_delay_alu instid0(VALU_DEP_1) | instskip(SKIP_1) | instid1(VALU_DEP_1)
	v_add_f64_e32 v[74:75], v[78:79], v[74:75]
	v_mul_f64_e32 v[78:79], s[0:1], v[136:137]
	v_fma_f64 v[136:137], v[140:141], s[48:49], v[78:79]
	s_delay_alu instid0(VALU_DEP_1) | instskip(SKIP_1) | instid1(VALU_DEP_1)
	v_add_f64_e32 v[76:77], v[136:137], v[76:77]
	v_fma_f64 v[136:137], v[204:205], s[0:1], -v[134:135]
	v_add_f64_e32 v[74:75], v[136:137], v[74:75]
	v_fma_f64 v[136:137], v[20:21], s[38:39], v[2:3]
	v_fma_f64 v[2:3], v[20:21], s[22:23], v[2:3]
	s_delay_alu instid0(VALU_DEP_2) | instskip(SKIP_1) | instid1(VALU_DEP_1)
	v_add_f64_e32 v[76:77], v[136:137], v[76:77]
	v_mul_f64_e32 v[136:137], s[38:39], v[106:107]
	v_fma_f64 v[106:107], v[26:27], s[20:21], -v[136:137]
	s_delay_alu instid0(VALU_DEP_1) | instskip(SKIP_1) | instid1(VALU_DEP_1)
	v_add_f64_e32 v[74:75], v[106:107], v[74:75]
	v_fma_f64 v[106:107], v[10:11], s[44:45], v[130:131]
	v_add_f64_e32 v[76:77], v[106:107], v[76:77]
	v_fma_f64 v[106:107], v[8:9], s[6:7], -v[144:145]
	s_delay_alu instid0(VALU_DEP_1) | instskip(SKIP_1) | instid1(VALU_DEP_1)
	v_add_f64_e32 v[74:75], v[106:107], v[74:75]
	v_fma_f64 v[106:107], v[6:7], s[24:25], v[0:1]
	v_add_f64_e32 v[76:77], v[106:107], v[76:77]
	v_fma_f64 v[106:107], v[12:13], s[16:17], -v[28:29]
	v_fma_f64 v[28:29], v[12:13], s[16:17], v[28:29]
	s_delay_alu instid0(VALU_DEP_2) | instskip(SKIP_1) | instid1(VALU_DEP_1)
	v_add_f64_e32 v[74:75], v[106:107], v[74:75]
	v_fma_f64 v[106:107], v[239:240], s[50:51], v[237:238]
	v_add_f64_e32 v[108:109], v[106:107], v[76:77]
	v_fma_f64 v[76:77], v[4:5], s[12:13], -v[30:31]
	s_delay_alu instid0(VALU_DEP_1) | instskip(SKIP_1) | instid1(VALU_DEP_1)
	v_add_f64_e32 v[106:107], v[76:77], v[74:75]
	v_add_nc_u32_e32 v76, 0x190, v255
	v_mad_co_u64_u32 v[74:75], null, s8, v76, 0
	s_delay_alu instid0(VALU_DEP_1) | instskip(NEXT) | instid1(VALU_DEP_1)
	v_mov_b32_e32 v33, v75
	v_mad_co_u64_u32 v[75:76], null, s9, v76, v[33:34]
	s_delay_alu instid0(VALU_DEP_1) | instskip(NEXT) | instid1(VALU_DEP_1)
	v_lshlrev_b64_e32 v[74:75], 4, v[74:75]
	v_add_co_u32 v74, vcc_lo, v32, v74
	s_wait_alu 0xfffd
	s_delay_alu instid0(VALU_DEP_2) | instskip(SKIP_2) | instid1(VALU_DEP_1)
	v_add_co_ci_u32_e32 v75, vcc_lo, v230, v75, vcc_lo
	global_store_b128 v[74:75], v[106:109], off
	v_fma_f64 v[74:75], v[14:15], s[2:3], v[231:232]
	v_add_f64_e32 v[72:73], v[74:75], v[72:73]
	v_fma_f64 v[74:75], v[132:133], s[28:29], v[233:234]
	s_delay_alu instid0(VALU_DEP_1) | instskip(SKIP_1) | instid1(VALU_DEP_1)
	v_add_f64_e32 v[68:69], v[74:75], v[68:69]
	v_fma_f64 v[74:75], v[110:111], s[26:27], v[166:167]
	v_add_f64_e32 v[72:73], v[74:75], v[72:73]
	v_fma_f64 v[74:75], v[140:141], s[10:11], v[78:79]
	v_dual_mov_b32 v79, v7 :: v_dual_mov_b32 v78, v6
	v_fma_f64 v[6:7], v[132:133], s[50:51], v[36:37]
	s_delay_alu instid0(VALU_DEP_3) | instskip(SKIP_1) | instid1(VALU_DEP_2)
	v_add_f64_e32 v[68:69], v[74:75], v[68:69]
	v_fma_f64 v[74:75], v[204:205], s[0:1], v[134:135]
	v_add_f64_e32 v[2:3], v[2:3], v[68:69]
	s_delay_alu instid0(VALU_DEP_2) | instskip(SKIP_3) | instid1(VALU_DEP_1)
	v_add_f64_e32 v[72:73], v[74:75], v[72:73]
	v_mov_b32_e32 v75, v5
	v_fma_f64 v[68:69], v[26:27], s[20:21], v[136:137]
	v_mov_b32_e32 v74, v4
	v_fma_f64 v[30:31], v[74:75], s[12:13], v[30:31]
	s_delay_alu instid0(VALU_DEP_3) | instskip(SKIP_3) | instid1(VALU_DEP_3)
	v_add_f64_e32 v[68:69], v[68:69], v[72:73]
	v_fma_f64 v[72:73], v[10:11], s[14:15], v[130:131]
	v_dual_mov_b32 v131, v9 :: v_dual_mov_b32 v130, v8
	v_fma_f64 v[8:9], v[18:19], s[14:15], v[38:39]
	v_add_f64_e32 v[2:3], v[72:73], v[2:3]
	s_delay_alu instid0(VALU_DEP_3) | instskip(NEXT) | instid1(VALU_DEP_1)
	v_fma_f64 v[72:73], v[130:131], s[6:7], v[144:145]
	v_add_f64_e32 v[68:69], v[72:73], v[68:69]
	v_fma_f64 v[72:73], v[78:79], s[18:19], v[0:1]
	v_fma_f64 v[0:1], v[110:111], s[12:13], v[24:25]
	v_dual_mov_b32 v25, v11 :: v_dual_mov_b32 v24, v10
	s_delay_alu instid0(VALU_DEP_4) | instskip(NEXT) | instid1(VALU_DEP_4)
	v_add_f64_e32 v[28:29], v[28:29], v[68:69]
	v_add_f64_e32 v[2:3], v[72:73], v[2:3]
	v_fma_f64 v[68:69], v[239:240], s[42:43], v[237:238]
	s_delay_alu instid0(VALU_DEP_3) | instskip(SKIP_1) | instid1(VALU_DEP_3)
	v_add_f64_e32 v[106:107], v[30:31], v[28:29]
	v_add_nc_u32_e32 v28, 0x1c2, v255
	v_add_f64_e32 v[108:109], v[68:69], v[2:3]
	v_dual_mov_b32 v68, v130 :: v_dual_mov_b32 v69, v131
	s_delay_alu instid0(VALU_DEP_3) | instskip(NEXT) | instid1(VALU_DEP_1)
	v_mad_co_u64_u32 v[2:3], null, s8, v28, 0
	v_mad_co_u64_u32 v[28:29], null, s9, v28, v[3:4]
	v_fma_f64 v[4:5], v[14:15], s[6:7], v[34:35]
	v_dual_mov_b32 v34, v21 :: v_dual_mov_b32 v33, v20
	s_delay_alu instid0(VALU_DEP_3) | instskip(SKIP_2) | instid1(VALU_DEP_3)
	v_mov_b32_e32 v3, v28
	v_dual_mov_b32 v29, v19 :: v_dual_mov_b32 v28, v18
	v_dual_mov_b32 v16, v78 :: v_dual_mov_b32 v17, v79
	v_lshlrev_b64_e32 v[2:3], 4, v[2:3]
	v_dual_mov_b32 v36, v74 :: v_dual_mov_b32 v37, v75
	v_dual_mov_b32 v19, v13 :: v_dual_mov_b32 v18, v12
	s_delay_alu instid0(VALU_DEP_3) | instskip(SKIP_1) | instid1(VALU_DEP_4)
	v_add_co_u32 v2, vcc_lo, v32, v2
	s_wait_alu 0xfffd
	v_add_co_ci_u32_e32 v3, vcc_lo, v230, v3, vcc_lo
	global_store_b128 v[2:3], v[106:109], off
	v_fma_f64 v[2:3], v[70:71], s[28:29], v[44:45]
	s_delay_alu instid0(VALU_DEP_1) | instskip(NEXT) | instid1(VALU_DEP_1)
	v_add_f64_e32 v[2:3], v[94:95], v[2:3]
	v_add_f64_e32 v[2:3], v[8:9], v[2:3]
	v_fma_f64 v[8:9], v[102:103], s[26:27], v[40:41]
	s_delay_alu instid0(VALU_DEP_2) | instskip(NEXT) | instid1(VALU_DEP_2)
	v_add_f64_e32 v[2:3], v[6:7], v[2:3]
	v_add_f64_e32 v[8:9], v[92:93], v[8:9]
	v_fma_f64 v[6:7], v[74:75], s[16:17], v[50:51]
	s_delay_alu instid0(VALU_DEP_2) | instskip(SKIP_1) | instid1(VALU_DEP_2)
	v_add_f64_e32 v[4:5], v[4:5], v[8:9]
	v_fma_f64 v[8:9], v[36:37], s[0:1], v[194:195]
	v_add_f64_e32 v[0:1], v[0:1], v[4:5]
	v_fma_f64 v[4:5], v[140:141], s[38:39], v[112:113]
	s_delay_alu instid0(VALU_DEP_1) | instskip(SKIP_1) | instid1(VALU_DEP_1)
	v_add_f64_e32 v[2:3], v[4:5], v[2:3]
	v_fma_f64 v[4:5], v[204:205], s[20:21], v[114:115]
	v_add_f64_e32 v[0:1], v[4:5], v[0:1]
	v_fma_f64 v[4:5], v[20:21], s[46:47], v[116:117]
	s_delay_alu instid0(VALU_DEP_1) | instskip(SKIP_1) | instid1(VALU_DEP_1)
	v_add_f64_e32 v[2:3], v[4:5], v[2:3]
	v_fma_f64 v[4:5], v[26:27], s[2:3], v[118:119]
	v_add_f64_e32 v[0:1], v[4:5], v[0:1]
	v_fma_f64 v[4:5], v[10:11], s[34:35], v[120:121]
	scratch_load_b64 v[10:11], off, off offset:72 th:TH_LOAD_LU ; 8-byte Folded Reload
	v_add_f64_e32 v[2:3], v[4:5], v[2:3]
	v_fma_f64 v[4:5], v[130:131], s[30:31], v[122:123]
	s_delay_alu instid0(VALU_DEP_1) | instskip(SKIP_1) | instid1(VALU_DEP_1)
	v_add_f64_e32 v[0:1], v[4:5], v[0:1]
	v_fma_f64 v[4:5], v[78:79], s[10:11], v[124:125]
	v_add_f64_e32 v[2:3], v[4:5], v[2:3]
	v_fma_f64 v[4:5], v[12:13], s[0:1], v[22:23]
	v_dual_mov_b32 v22, v130 :: v_dual_mov_b32 v23, v131
	s_delay_alu instid0(VALU_DEP_2) | instskip(SKIP_1) | instid1(VALU_DEP_2)
	v_add_f64_e32 v[0:1], v[4:5], v[0:1]
	v_fma_f64 v[4:5], v[239:240], s[18:19], v[128:129]
	v_add_f64_e32 v[106:107], v[6:7], v[0:1]
	s_delay_alu instid0(VALU_DEP_2) | instskip(SKIP_3) | instid1(VALU_DEP_3)
	v_add_f64_e32 v[108:109], v[4:5], v[2:3]
	v_add_nc_u32_e32 v2, 0x1f4, v255
	v_fma_f64 v[4:5], v[14:15], s[16:17], v[58:59]
	v_fma_f64 v[6:7], v[36:37], s[6:7], v[46:47]
	v_mad_co_u64_u32 v[0:1], null, s8, v2, 0
	s_delay_alu instid0(VALU_DEP_1) | instskip(SKIP_1) | instid1(VALU_DEP_2)
	v_mad_co_u64_u32 v[1:2], null, s9, v2, v[1:2]
	v_fma_f64 v[2:3], v[28:29], s[24:25], v[241:242]
	v_lshlrev_b64_e32 v[0:1], 4, v[0:1]
	s_delay_alu instid0(VALU_DEP_1) | instskip(SKIP_1) | instid1(VALU_DEP_2)
	v_add_co_u32 v0, vcc_lo, v32, v0
	s_wait_alu 0xfffd
	v_add_co_ci_u32_e32 v1, vcc_lo, v230, v1, vcc_lo
	global_store_b128 v[0:1], v[106:109], off
	v_fma_f64 v[0:1], v[70:71], s[22:23], v[235:236]
	s_delay_alu instid0(VALU_DEP_1) | instskip(NEXT) | instid1(VALU_DEP_1)
	v_add_f64_e32 v[0:1], v[94:95], v[0:1]
	v_add_f64_e32 v[0:1], v[2:3], v[0:1]
	v_fma_f64 v[2:3], v[102:103], s[20:21], v[60:61]
	s_delay_alu instid0(VALU_DEP_1) | instskip(NEXT) | instid1(VALU_DEP_1)
	v_add_f64_e32 v[2:3], v[92:93], v[2:3]
	v_add_f64_e32 v[2:3], v[4:5], v[2:3]
	v_fma_f64 v[4:5], v[132:133], s[46:47], v[243:244]
	s_delay_alu instid0(VALU_DEP_1) | instskip(SKIP_1) | instid1(VALU_DEP_1)
	v_add_f64_e32 v[0:1], v[4:5], v[0:1]
	v_fma_f64 v[4:5], v[110:111], s[2:3], v[245:246]
	v_add_f64_e32 v[2:3], v[4:5], v[2:3]
	v_fma_f64 v[4:5], v[140:141], s[28:29], v[247:248]
	s_delay_alu instid0(VALU_DEP_1) | instskip(SKIP_1) | instid1(VALU_DEP_1)
	v_add_f64_e32 v[0:1], v[4:5], v[0:1]
	v_fma_f64 v[4:5], v[204:205], s[26:27], v[249:250]
	;; [unrolled: 5-line block ×5, first 2 shown]
	v_add_f64_e32 v[2:3], v[4:5], v[2:3]
	v_fma_f64 v[4:5], v[239:240], s[14:15], v[48:49]
	s_delay_alu instid0(VALU_DEP_2) | instskip(NEXT) | instid1(VALU_DEP_2)
	v_add_f64_e32 v[106:107], v[6:7], v[2:3]
	v_add_f64_e32 v[108:109], v[4:5], v[0:1]
	v_add_nc_u32_e32 v2, 0x226, v255
	v_fma_f64 v[4:5], v[42:43], s[26:27], v[62:63]
	v_fma_f64 v[6:7], v[36:37], s[20:21], v[226:227]
	v_dual_mov_b32 v36, v27 :: v_dual_mov_b32 v35, v26
	s_delay_alu instid0(VALU_DEP_4) | instskip(SKIP_1) | instid1(VALU_DEP_2)
	v_mad_co_u64_u32 v[0:1], null, s8, v2, 0
	v_dual_mov_b32 v38, v34 :: v_dual_mov_b32 v37, v33
	v_mad_co_u64_u32 v[1:2], null, s9, v2, v[1:2]
	v_fma_f64 v[2:3], v[28:29], s[36:37], v[198:199]
	s_delay_alu instid0(VALU_DEP_2) | instskip(NEXT) | instid1(VALU_DEP_1)
	v_lshlrev_b64_e32 v[0:1], 4, v[0:1]
	v_add_co_u32 v0, vcc_lo, v32, v0
	s_wait_alu 0xfffd
	s_delay_alu instid0(VALU_DEP_2) | instskip(SKIP_2) | instid1(VALU_DEP_1)
	v_add_co_ci_u32_e32 v1, vcc_lo, v230, v1, vcc_lo
	global_store_b128 v[0:1], v[106:109], off
	v_fma_f64 v[0:1], v[70:71], s[18:19], v[196:197]
	v_add_f64_e32 v[0:1], v[94:95], v[0:1]
	s_delay_alu instid0(VALU_DEP_1) | instskip(SKIP_1) | instid1(VALU_DEP_1)
	v_add_f64_e32 v[0:1], v[2:3], v[0:1]
	v_fma_f64 v[2:3], v[102:103], s[16:17], v[200:201]
	v_add_f64_e32 v[2:3], v[92:93], v[2:3]
	s_delay_alu instid0(VALU_DEP_1) | instskip(SKIP_1) | instid1(VALU_DEP_1)
	v_add_f64_e32 v[2:3], v[4:5], v[2:3]
	v_fma_f64 v[4:5], v[132:133], s[10:11], v[202:203]
	v_add_f64_e32 v[0:1], v[4:5], v[0:1]
	v_fma_f64 v[4:5], v[110:111], s[0:1], v[206:207]
	s_delay_alu instid0(VALU_DEP_1) | instskip(SKIP_1) | instid1(VALU_DEP_1)
	v_add_f64_e32 v[2:3], v[4:5], v[2:3]
	v_fma_f64 v[4:5], v[140:141], s[44:45], v[208:209]
	v_add_f64_e32 v[0:1], v[4:5], v[0:1]
	v_fma_f64 v[4:5], v[204:205], s[6:7], v[210:211]
	;; [unrolled: 5-line block ×5, first 2 shown]
	s_delay_alu instid0(VALU_DEP_1) | instskip(SKIP_1) | instid1(VALU_DEP_2)
	v_add_f64_e32 v[2:3], v[4:5], v[2:3]
	v_fma_f64 v[4:5], v[239:240], s[22:23], v[224:225]
	v_add_f64_e32 v[106:107], v[6:7], v[2:3]
	s_delay_alu instid0(VALU_DEP_2) | instskip(SKIP_2) | instid1(VALU_DEP_2)
	v_add_f64_e32 v[108:109], v[4:5], v[0:1]
	v_add_nc_u32_e32 v2, 0x258, v255
	v_fma_f64 v[4:5], v[42:43], s[30:31], v[64:65]
	v_mad_co_u64_u32 v[0:1], null, s8, v2, 0
	s_delay_alu instid0(VALU_DEP_1) | instskip(SKIP_1) | instid1(VALU_DEP_2)
	v_mad_co_u64_u32 v[1:2], null, s9, v2, v[1:2]
	v_fma_f64 v[2:3], v[28:29], s[34:35], v[66:67]
	v_lshlrev_b64_e32 v[0:1], 4, v[0:1]
	s_delay_alu instid0(VALU_DEP_1) | instskip(SKIP_1) | instid1(VALU_DEP_2)
	v_add_co_u32 v0, vcc_lo, v32, v0
	s_wait_alu 0xfffd
	v_add_co_ci_u32_e32 v1, vcc_lo, v230, v1, vcc_lo
	global_store_b128 v[0:1], v[106:109], off
	v_fma_f64 v[0:1], v[70:71], s[50:51], v[80:81]
	s_delay_alu instid0(VALU_DEP_1) | instskip(NEXT) | instid1(VALU_DEP_1)
	v_add_f64_e32 v[0:1], v[94:95], v[0:1]
	v_add_f64_e32 v[0:1], v[2:3], v[0:1]
	v_fma_f64 v[2:3], v[102:103], s[12:13], v[168:169]
	s_delay_alu instid0(VALU_DEP_1) | instskip(NEXT) | instid1(VALU_DEP_1)
	v_add_f64_e32 v[2:3], v[92:93], v[2:3]
	v_add_f64_e32 v[2:3], v[4:5], v[2:3]
	v_fma_f64 v[4:5], v[132:133], s[24:25], v[170:171]
	s_delay_alu instid0(VALU_DEP_1) | instskip(SKIP_1) | instid1(VALU_DEP_1)
	v_add_f64_e32 v[0:1], v[4:5], v[0:1]
	v_fma_f64 v[4:5], v[110:111], s[16:17], v[174:175]
	v_add_f64_e32 v[2:3], v[4:5], v[2:3]
	v_fma_f64 v[4:5], v[140:141], s[4:5], v[176:177]
	s_delay_alu instid0(VALU_DEP_1) | instskip(SKIP_1) | instid1(VALU_DEP_1)
	v_add_f64_e32 v[0:1], v[4:5], v[0:1]
	v_fma_f64 v[4:5], v[204:205], s[2:3], v[178:179]
	v_add_f64_e32 v[2:3], v[4:5], v[2:3]
	v_fma_f64 v[4:5], v[20:21], s[44:45], v[180:181]
	v_dual_mov_b32 v20, v78 :: v_dual_mov_b32 v21, v79
	s_delay_alu instid0(VALU_DEP_2) | instskip(SKIP_1) | instid1(VALU_DEP_1)
	v_add_f64_e32 v[0:1], v[4:5], v[0:1]
	v_fma_f64 v[4:5], v[26:27], s[6:7], v[182:183]
	v_add_f64_e32 v[2:3], v[4:5], v[2:3]
	v_fma_f64 v[4:5], v[24:25], s[28:29], v[184:185]
	s_delay_alu instid0(VALU_DEP_1) | instskip(SKIP_1) | instid1(VALU_DEP_1)
	v_add_f64_e32 v[0:1], v[4:5], v[0:1]
	v_fma_f64 v[4:5], v[68:69], s[26:27], v[186:187]
	v_add_f64_e32 v[2:3], v[4:5], v[2:3]
	v_fma_f64 v[4:5], v[16:17], s[38:39], v[188:189]
	v_dual_mov_b32 v16, v74 :: v_dual_mov_b32 v17, v75
	s_delay_alu instid0(VALU_DEP_2) | instskip(SKIP_1) | instid1(VALU_DEP_1)
	v_add_f64_e32 v[0:1], v[4:5], v[0:1]
	v_fma_f64 v[4:5], v[18:19], s[20:21], v[190:191]
	v_add_f64_e32 v[2:3], v[4:5], v[2:3]
	v_fma_f64 v[4:5], v[239:240], s[10:11], v[192:193]
	s_delay_alu instid0(VALU_DEP_1) | instskip(NEXT) | instid1(VALU_DEP_3)
	v_add_f64_e32 v[6:7], v[4:5], v[0:1]
	v_add_f64_e32 v[4:5], v[8:9], v[2:3]
	v_add_nc_u32_e32 v2, 0x28a, v255
	scratch_load_b64 v[8:9], off, off offset:168 th:TH_LOAD_LU ; 8-byte Folded Reload
	v_mad_co_u64_u32 v[0:1], null, s8, v2, 0
	s_delay_alu instid0(VALU_DEP_1) | instskip(SKIP_2) | instid1(VALU_DEP_1)
	v_mad_co_u64_u32 v[1:2], null, s9, v2, v[1:2]
	scratch_load_b64 v[2:3], off, off offset:160 th:TH_LOAD_LU ; 8-byte Folded Reload
	v_lshlrev_b64_e32 v[0:1], 4, v[0:1]
	v_add_co_u32 v0, vcc_lo, v32, v0
	s_wait_alu 0xfffd
	s_delay_alu instid0(VALU_DEP_2) | instskip(SKIP_4) | instid1(VALU_DEP_2)
	v_add_co_ci_u32_e32 v1, vcc_lo, v230, v1, vcc_lo
	global_store_b128 v[0:1], v[4:7], off
	scratch_load_b64 v[4:5], off, off offset:56 th:TH_LOAD_LU ; 8-byte Folded Reload
	v_fma_f64 v[0:1], v[70:71], s[44:45], v[104:105]
	v_fma_f64 v[6:7], v[102:103], s[6:7], v[84:85]
	v_add_f64_e32 v[0:1], v[94:95], v[0:1]
	s_delay_alu instid0(VALU_DEP_2) | instskip(SKIP_4) | instid1(VALU_DEP_2)
	v_add_f64_e32 v[6:7], v[92:93], v[6:7]
	s_wait_loadcnt 0x1
	v_fma_f64 v[2:3], v[70:71], s[48:49], v[2:3]
	s_wait_loadcnt 0x0
	v_fma_f64 v[4:5], v[70:71], s[46:47], v[4:5]
	v_add_f64_e32 v[12:13], v[94:95], v[2:3]
	v_fma_f64 v[2:3], v[28:29], s[22:23], v[138:139]
	s_delay_alu instid0(VALU_DEP_3) | instskip(SKIP_1) | instid1(VALU_DEP_3)
	v_add_f64_e32 v[14:15], v[94:95], v[4:5]
	v_fma_f64 v[4:5], v[132:133], s[40:41], v[142:143]
	v_add_f64_e32 v[0:1], v[2:3], v[0:1]
	v_fma_f64 v[2:3], v[42:43], s[20:21], v[86:87]
	s_delay_alu instid0(VALU_DEP_2) | instskip(NEXT) | instid1(VALU_DEP_2)
	v_add_f64_e32 v[0:1], v[4:5], v[0:1]
	v_add_f64_e32 v[2:3], v[2:3], v[6:7]
	v_fma_f64 v[4:5], v[110:111], s[30:31], v[146:147]
	v_fma_f64 v[6:7], v[16:17], s[26:27], v[82:83]
	s_delay_alu instid0(VALU_DEP_2) | instskip(SKIP_1) | instid1(VALU_DEP_1)
	v_add_f64_e32 v[2:3], v[4:5], v[2:3]
	v_fma_f64 v[4:5], v[140:141], s[24:25], v[148:149]
	v_add_f64_e32 v[0:1], v[4:5], v[0:1]
	v_fma_f64 v[4:5], v[204:205], s[16:17], v[150:151]
	s_delay_alu instid0(VALU_DEP_1) | instskip(SKIP_1) | instid1(VALU_DEP_1)
	v_add_f64_e32 v[2:3], v[4:5], v[2:3]
	v_fma_f64 v[4:5], v[33:34], s[10:11], v[152:153]
	v_add_f64_e32 v[0:1], v[4:5], v[0:1]
	v_fma_f64 v[4:5], v[26:27], s[0:1], v[154:155]
	s_delay_alu instid0(VALU_DEP_1) | instskip(SKIP_1) | instid1(VALU_DEP_1)
	;; [unrolled: 5-line block ×4, first 2 shown]
	v_add_f64_e32 v[4:5], v[4:5], v[2:3]
	v_fma_f64 v[2:3], v[239:240], s[28:29], v[164:165]
	v_add_f64_e32 v[2:3], v[2:3], v[0:1]
	s_delay_alu instid0(VALU_DEP_3) | instskip(SKIP_4) | instid1(VALU_DEP_1)
	v_add_f64_e32 v[0:1], v[6:7], v[4:5]
	s_clause 0x1
	scratch_load_b64 v[4:5], off, off offset:128 th:TH_LOAD_LU
	scratch_load_b64 v[6:7], off, off offset:136 th:TH_LOAD_LU
	v_fma_f64 v[8:9], v[102:103], s[0:1], v[8:9]
	v_add_f64_e32 v[8:9], v[92:93], v[8:9]
	s_wait_loadcnt 0x1
	v_fma_f64 v[4:5], v[28:29], s[50:51], v[4:5]
	s_wait_loadcnt 0x0
	v_fma_f64 v[6:7], v[42:43], s[12:13], v[6:7]
	s_delay_alu instid0(VALU_DEP_2) | instskip(NEXT) | instid1(VALU_DEP_2)
	v_add_f64_e32 v[4:5], v[4:5], v[12:13]
	v_add_f64_e32 v[6:7], v[6:7], v[8:9]
	scratch_load_b64 v[8:9], off, off offset:144 th:TH_LOAD_LU ; 8-byte Folded Reload
	s_wait_loadcnt 0x0
	v_fma_f64 v[8:9], v[132:133], s[22:23], v[8:9]
	s_delay_alu instid0(VALU_DEP_1) | instskip(SKIP_3) | instid1(VALU_DEP_1)
	v_add_f64_e32 v[4:5], v[8:9], v[4:5]
	scratch_load_b64 v[8:9], off, off offset:152 th:TH_LOAD_LU ; 8-byte Folded Reload
	s_wait_loadcnt 0x0
	v_fma_f64 v[8:9], v[110:111], s[20:21], v[8:9]
	v_add_f64_e32 v[6:7], v[8:9], v[6:7]
	scratch_load_b64 v[8:9], off, off offset:176 th:TH_LOAD_LU ; 8-byte Folded Reload
	s_wait_loadcnt 0x0
	v_fma_f64 v[8:9], v[140:141], s[34:35], v[8:9]
	s_delay_alu instid0(VALU_DEP_1) | instskip(SKIP_3) | instid1(VALU_DEP_1)
	v_add_f64_e32 v[4:5], v[8:9], v[4:5]
	scratch_load_b64 v[8:9], off, off offset:184 th:TH_LOAD_LU ; 8-byte Folded Reload
	s_wait_loadcnt 0x0
	v_fma_f64 v[8:9], v[204:205], s[30:31], v[8:9]
	v_add_f64_e32 v[6:7], v[8:9], v[6:7]
	scratch_load_b64 v[8:9], off, off offset:192 th:TH_LOAD_LU ; 8-byte Folded Reload
	s_wait_loadcnt 0x0
	v_fma_f64 v[8:9], v[33:34], s[36:37], v[8:9]
	v_dual_mov_b32 v34, v25 :: v_dual_mov_b32 v33, v24
	s_delay_alu instid0(VALU_DEP_2) | instskip(SKIP_4) | instid1(VALU_DEP_2)
	v_add_f64_e32 v[4:5], v[8:9], v[4:5]
	scratch_load_b64 v[8:9], off, off offset:200 th:TH_LOAD_LU ; 8-byte Folded Reload
	s_wait_loadcnt 0x0
	v_fma_f64 v[8:9], v[26:27], s[26:27], v[8:9]
	v_dual_mov_b32 v26, v130 :: v_dual_mov_b32 v27, v131
	v_add_f64_e32 v[6:7], v[8:9], v[6:7]
	scratch_load_b64 v[8:9], off, off offset:208 th:TH_LOAD_LU ; 8-byte Folded Reload
	s_wait_loadcnt 0x0
	v_fma_f64 v[8:9], v[24:25], s[24:25], v[8:9]
	v_dual_mov_b32 v25, v19 :: v_dual_mov_b32 v24, v18
	s_delay_alu instid0(VALU_DEP_2) | instskip(SKIP_3) | instid1(VALU_DEP_3)
	v_add_f64_e32 v[4:5], v[8:9], v[4:5]
	v_fma_f64 v[8:9], v[22:23], s[16:17], v[90:91]
	v_dual_mov_b32 v22, v78 :: v_dual_mov_b32 v23, v79
	v_fma_f64 v[12:13], v[16:17], s[2:3], v[88:89]
	v_add_f64_e32 v[6:7], v[8:9], v[6:7]
	v_fma_f64 v[8:9], v[20:21], s[14:15], v[96:97]
	v_dual_mov_b32 v20, v74 :: v_dual_mov_b32 v21, v75
	s_delay_alu instid0(VALU_DEP_2)
	v_add_f64_e32 v[4:5], v[8:9], v[4:5]
	v_fma_f64 v[8:9], v[18:19], s[6:7], v[98:99]
	scratch_load_b64 v[18:19], off, off offset:16 th:TH_LOAD_LU ; 8-byte Folded Reload
	v_fma_f64 v[10:11], v[102:103], s[2:3], v[10:11]
	v_add_f64_e32 v[8:9], v[8:9], v[6:7]
	v_fma_f64 v[6:7], v[239:240], s[4:5], v[100:101]
	s_delay_alu instid0(VALU_DEP_3) | instskip(NEXT) | instid1(VALU_DEP_2)
	v_add_f64_e32 v[10:11], v[92:93], v[10:11]
	v_add_f64_e32 v[6:7], v[6:7], v[4:5]
	s_delay_alu instid0(VALU_DEP_4)
	v_add_f64_e32 v[4:5], v[12:13], v[8:9]
	s_clause 0x1
	scratch_load_b64 v[8:9], off, off th:TH_LOAD_LU
	scratch_load_b64 v[12:13], off, off offset:8 th:TH_LOAD_LU
	s_wait_loadcnt 0x2
	v_fma_f64 v[16:17], v[132:133], s[44:45], v[18:19]
	scratch_load_b64 v[18:19], off, off offset:24 th:TH_LOAD_LU ; 8-byte Folded Reload
	s_wait_loadcnt 0x2
	v_fma_f64 v[8:9], v[28:29], s[48:49], v[8:9]
	s_wait_loadcnt 0x1
	v_fma_f64 v[12:13], v[42:43], s[0:1], v[12:13]
	s_delay_alu instid0(VALU_DEP_2) | instskip(NEXT) | instid1(VALU_DEP_2)
	v_add_f64_e32 v[8:9], v[8:9], v[14:15]
	v_add_f64_e32 v[10:11], v[12:13], v[10:11]
	s_clause 0x1
	scratch_load_b64 v[12:13], off, off offset:32 th:TH_LOAD_LU
	scratch_load_b64 v[14:15], off, off offset:40 th:TH_LOAD_LU
	v_add_f64_e32 v[8:9], v[16:17], v[8:9]
	scratch_load_b64 v[16:17], off, off offset:48 th:TH_LOAD_LU ; 8-byte Folded Reload
	s_wait_loadcnt 0x3
	v_fma_f64 v[18:19], v[110:111], s[6:7], v[18:19]
	s_delay_alu instid0(VALU_DEP_1)
	v_add_f64_e32 v[10:11], v[18:19], v[10:11]
	scratch_load_b64 v[18:19], off, off offset:64 th:TH_LOAD_LU ; 8-byte Folded Reload
	s_wait_loadcnt 0x3
	v_fma_f64 v[12:13], v[140:141], s[50:51], v[12:13]
	s_wait_loadcnt 0x2
	v_fma_f64 v[14:15], v[204:205], s[12:13], v[14:15]
	;; [unrolled: 2-line block ×3, first 2 shown]
	s_delay_alu instid0(VALU_DEP_3)
	v_add_f64_e32 v[8:9], v[12:13], v[8:9]
	scratch_load_b64 v[12:13], off, off offset:80 th:TH_LOAD_LU ; 8-byte Folded Reload
	v_add_f64_e32 v[10:11], v[14:15], v[10:11]
	scratch_load_b64 v[14:15], off, off offset:88 th:TH_LOAD_LU ; 8-byte Folded Reload
	;; [unrolled: 2-line block ×3, first 2 shown]
	s_wait_loadcnt 0x3
	v_fma_f64 v[18:19], v[35:36], s[16:17], v[18:19]
	s_delay_alu instid0(VALU_DEP_1)
	v_add_f64_e32 v[10:11], v[18:19], v[10:11]
	scratch_load_b64 v[18:19], off, off offset:104 th:TH_LOAD_LU ; 8-byte Folded Reload
	s_wait_loadcnt 0x3
	v_fma_f64 v[12:13], v[33:34], s[22:23], v[12:13]
	s_wait_loadcnt 0x2
	v_fma_f64 v[14:15], v[26:27], s[20:21], v[14:15]
	s_delay_alu instid0(VALU_DEP_2)
	v_add_f64_e32 v[8:9], v[12:13], v[8:9]
	scratch_load_b64 v[12:13], off, off offset:112 th:TH_LOAD_LU ; 8-byte Folded Reload
	v_add_f64_e32 v[10:11], v[14:15], v[10:11]
	scratch_load_b64 v[14:15], off, off offset:120 th:TH_LOAD_LU ; 8-byte Folded Reload
	s_wait_loadcnt 0x3
	v_fma_f64 v[16:17], v[22:23], s[28:29], v[16:17]
	s_delay_alu instid0(VALU_DEP_1) | instskip(SKIP_2) | instid1(VALU_DEP_1)
	v_add_f64_e32 v[8:9], v[16:17], v[8:9]
	s_wait_loadcnt 0x2
	v_fma_f64 v[18:19], v[24:25], s[26:27], v[18:19]
	v_add_f64_e32 v[16:17], v[18:19], v[10:11]
	v_add_nc_u32_e32 v18, 0x2bc, v255
	s_wait_loadcnt 0x1
	v_fma_f64 v[12:13], v[239:240], s[34:35], v[12:13]
	s_wait_loadcnt 0x0
	v_fma_f64 v[14:15], v[20:21], s[30:31], v[14:15]
	s_delay_alu instid0(VALU_DEP_2) | instskip(SKIP_1) | instid1(VALU_DEP_3)
	v_add_f64_e32 v[10:11], v[12:13], v[8:9]
	v_mad_co_u64_u32 v[12:13], null, s8, v18, 0
	v_add_f64_e32 v[8:9], v[14:15], v[16:17]
	v_add_nc_u32_e32 v16, 0x2ee, v255
	s_delay_alu instid0(VALU_DEP_3) | instskip(NEXT) | instid1(VALU_DEP_2)
	v_mad_co_u64_u32 v[13:14], null, s9, v18, v[13:14]
	v_mad_co_u64_u32 v[14:15], null, s8, v16, 0
	v_add_nc_u32_e32 v18, 0x320, v255
	s_delay_alu instid0(VALU_DEP_3) | instskip(NEXT) | instid1(VALU_DEP_3)
	v_lshlrev_b64_e32 v[12:13], 4, v[12:13]
	v_mad_co_u64_u32 v[15:16], null, s9, v16, v[15:16]
	s_delay_alu instid0(VALU_DEP_3) | instskip(NEXT) | instid1(VALU_DEP_3)
	v_mad_co_u64_u32 v[16:17], null, s8, v18, 0
	v_add_co_u32 v12, vcc_lo, v32, v12
	s_wait_alu 0xfffd
	s_delay_alu instid0(VALU_DEP_4) | instskip(NEXT) | instid1(VALU_DEP_4)
	v_add_co_ci_u32_e32 v13, vcc_lo, v230, v13, vcc_lo
	v_lshlrev_b64_e32 v[14:15], 4, v[14:15]
	s_delay_alu instid0(VALU_DEP_4) | instskip(NEXT) | instid1(VALU_DEP_2)
	v_mad_co_u64_u32 v[17:18], null, s9, v18, v[17:18]
	v_add_co_u32 v14, vcc_lo, v32, v14
	s_wait_alu 0xfffd
	s_delay_alu instid0(VALU_DEP_3) | instskip(NEXT) | instid1(VALU_DEP_3)
	v_add_co_ci_u32_e32 v15, vcc_lo, v230, v15, vcc_lo
	v_lshlrev_b64_e32 v[16:17], 4, v[16:17]
	s_delay_alu instid0(VALU_DEP_1) | instskip(SKIP_1) | instid1(VALU_DEP_2)
	v_add_co_u32 v16, vcc_lo, v32, v16
	s_wait_alu 0xfffd
	v_add_co_ci_u32_e32 v17, vcc_lo, v230, v17, vcc_lo
	s_clause 0x2
	global_store_b128 v[12:13], v[0:3], off
	global_store_b128 v[14:15], v[4:7], off
	;; [unrolled: 1-line block ×3, first 2 shown]
	s_endpgm
	.section	.rodata,"a",@progbits
	.p2align	6, 0x0
	.amdhsa_kernel fft_rtc_fwd_len850_factors_10_5_17_wgs_85_tpt_85_dp_ip_CI_sbrr_dirReg
		.amdhsa_group_segment_fixed_size 0
		.amdhsa_private_segment_fixed_size 220
		.amdhsa_kernarg_size 88
		.amdhsa_user_sgpr_count 2
		.amdhsa_user_sgpr_dispatch_ptr 0
		.amdhsa_user_sgpr_queue_ptr 0
		.amdhsa_user_sgpr_kernarg_segment_ptr 1
		.amdhsa_user_sgpr_dispatch_id 0
		.amdhsa_user_sgpr_private_segment_size 0
		.amdhsa_wavefront_size32 1
		.amdhsa_uses_dynamic_stack 0
		.amdhsa_enable_private_segment 1
		.amdhsa_system_sgpr_workgroup_id_x 1
		.amdhsa_system_sgpr_workgroup_id_y 0
		.amdhsa_system_sgpr_workgroup_id_z 0
		.amdhsa_system_sgpr_workgroup_info 0
		.amdhsa_system_vgpr_workitem_id 0
		.amdhsa_next_free_vgpr 256
		.amdhsa_next_free_sgpr 52
		.amdhsa_reserve_vcc 1
		.amdhsa_float_round_mode_32 0
		.amdhsa_float_round_mode_16_64 0
		.amdhsa_float_denorm_mode_32 3
		.amdhsa_float_denorm_mode_16_64 3
		.amdhsa_fp16_overflow 0
		.amdhsa_workgroup_processor_mode 1
		.amdhsa_memory_ordered 1
		.amdhsa_forward_progress 0
		.amdhsa_round_robin_scheduling 0
		.amdhsa_exception_fp_ieee_invalid_op 0
		.amdhsa_exception_fp_denorm_src 0
		.amdhsa_exception_fp_ieee_div_zero 0
		.amdhsa_exception_fp_ieee_overflow 0
		.amdhsa_exception_fp_ieee_underflow 0
		.amdhsa_exception_fp_ieee_inexact 0
		.amdhsa_exception_int_div_zero 0
	.end_amdhsa_kernel
	.text
.Lfunc_end0:
	.size	fft_rtc_fwd_len850_factors_10_5_17_wgs_85_tpt_85_dp_ip_CI_sbrr_dirReg, .Lfunc_end0-fft_rtc_fwd_len850_factors_10_5_17_wgs_85_tpt_85_dp_ip_CI_sbrr_dirReg
                                        ; -- End function
	.section	.AMDGPU.csdata,"",@progbits
; Kernel info:
; codeLenInByte = 12932
; NumSgprs: 54
; NumVgprs: 256
; ScratchSize: 220
; MemoryBound: 1
; FloatMode: 240
; IeeeMode: 1
; LDSByteSize: 0 bytes/workgroup (compile time only)
; SGPRBlocks: 6
; VGPRBlocks: 31
; NumSGPRsForWavesPerEU: 54
; NumVGPRsForWavesPerEU: 256
; Occupancy: 5
; WaveLimiterHint : 1
; COMPUTE_PGM_RSRC2:SCRATCH_EN: 1
; COMPUTE_PGM_RSRC2:USER_SGPR: 2
; COMPUTE_PGM_RSRC2:TRAP_HANDLER: 0
; COMPUTE_PGM_RSRC2:TGID_X_EN: 1
; COMPUTE_PGM_RSRC2:TGID_Y_EN: 0
; COMPUTE_PGM_RSRC2:TGID_Z_EN: 0
; COMPUTE_PGM_RSRC2:TIDIG_COMP_CNT: 0
	.text
	.p2alignl 7, 3214868480
	.fill 96, 4, 3214868480
	.type	__hip_cuid_960ad310ed3682ba,@object ; @__hip_cuid_960ad310ed3682ba
	.section	.bss,"aw",@nobits
	.globl	__hip_cuid_960ad310ed3682ba
__hip_cuid_960ad310ed3682ba:
	.byte	0                               ; 0x0
	.size	__hip_cuid_960ad310ed3682ba, 1

	.ident	"AMD clang version 19.0.0git (https://github.com/RadeonOpenCompute/llvm-project roc-6.4.0 25133 c7fe45cf4b819c5991fe208aaa96edf142730f1d)"
	.section	".note.GNU-stack","",@progbits
	.addrsig
	.addrsig_sym __hip_cuid_960ad310ed3682ba
	.amdgpu_metadata
---
amdhsa.kernels:
  - .args:
      - .actual_access:  read_only
        .address_space:  global
        .offset:         0
        .size:           8
        .value_kind:     global_buffer
      - .offset:         8
        .size:           8
        .value_kind:     by_value
      - .actual_access:  read_only
        .address_space:  global
        .offset:         16
        .size:           8
        .value_kind:     global_buffer
      - .actual_access:  read_only
        .address_space:  global
        .offset:         24
        .size:           8
        .value_kind:     global_buffer
      - .offset:         32
        .size:           8
        .value_kind:     by_value
      - .actual_access:  read_only
        .address_space:  global
        .offset:         40
        .size:           8
        .value_kind:     global_buffer
      - .actual_access:  read_only
        .address_space:  global
        .offset:         48
        .size:           8
        .value_kind:     global_buffer
      - .offset:         56
        .size:           4
        .value_kind:     by_value
      - .actual_access:  read_only
        .address_space:  global
        .offset:         64
        .size:           8
        .value_kind:     global_buffer
      - .actual_access:  read_only
        .address_space:  global
        .offset:         72
        .size:           8
        .value_kind:     global_buffer
      - .address_space:  global
        .offset:         80
        .size:           8
        .value_kind:     global_buffer
    .group_segment_fixed_size: 0
    .kernarg_segment_align: 8
    .kernarg_segment_size: 88
    .language:       OpenCL C
    .language_version:
      - 2
      - 0
    .max_flat_workgroup_size: 85
    .name:           fft_rtc_fwd_len850_factors_10_5_17_wgs_85_tpt_85_dp_ip_CI_sbrr_dirReg
    .private_segment_fixed_size: 220
    .sgpr_count:     54
    .sgpr_spill_count: 0
    .symbol:         fft_rtc_fwd_len850_factors_10_5_17_wgs_85_tpt_85_dp_ip_CI_sbrr_dirReg.kd
    .uniform_work_group_size: 1
    .uses_dynamic_stack: false
    .vgpr_count:     256
    .vgpr_spill_count: 54
    .wavefront_size: 32
    .workgroup_processor_mode: 1
amdhsa.target:   amdgcn-amd-amdhsa--gfx1201
amdhsa.version:
  - 1
  - 2
...

	.end_amdgpu_metadata
